;; amdgpu-corpus repo=ROCm/rccl kind=compiled arch=gfx1250 opt=O3
	.amdgcn_target "amdgcn-amd-amdhsa--gfx1250"
	.amdhsa_code_object_version 6
	.text
	.protected	_Z23ncclDevKernel_Generic_124ncclDevKernelArgsStorageILm4096EE ; -- Begin function _Z23ncclDevKernel_Generic_124ncclDevKernelArgsStorageILm4096EE
	.globl	_Z23ncclDevKernel_Generic_124ncclDevKernelArgsStorageILm4096EE
	.p2align	8
	.type	_Z23ncclDevKernel_Generic_124ncclDevKernelArgsStorageILm4096EE,@function
_Z23ncclDevKernel_Generic_124ncclDevKernelArgsStorageILm4096EE: ; @_Z23ncclDevKernel_Generic_124ncclDevKernelArgsStorageILm4096EE
; %bb.0:
	v_mov_b32_e32 v40, v0
	s_mov_b64 s[34:35], s[6:7]
	s_mov_b64 s[36:37], s[4:5]
	;; [unrolled: 1-line block ×4, first 2 shown]
	v_and_b32_e32 v8, 0x3ff, v40
	s_mov_b32 s0, exec_lo
	s_mov_b32 s32, 16
	s_delay_alu instid0(VALU_DEP_1)
	v_cmpx_gt_u32_e32 12, v8
	s_cbranch_execz .LBB0_2
; %bb.1:
	global_load_b32 v0, v8, s[36:37] scale_offset
	v_lshlrev_b32_e32 v1, 2, v8
	s_wait_loadcnt 0x0
	ds_store_b32 v1, v0 offset:16512
.LBB0_2:
	s_or_b32 exec_lo, exec_lo, s0
	s_load_b32 s3, s[36:37], 0x100c
	s_bfe_u32 s0, ttmp6, 0x4000c
	s_and_b32 s1, ttmp6, 15
	s_add_co_i32 s0, s0, 1
	s_getreg_b32 s2, hwreg(HW_REG_IB_STS2, 6, 4)
	s_mul_i32 s0, ttmp9, s0
	v_lshrrev_b32_e32 v9, 5, v8
	s_add_co_i32 s1, s1, s0
	s_cmp_eq_u32 s2, 0
	s_mov_b32 s0, exec_lo
	s_cselect_b32 s2, ttmp9, s1
	v_cmpx_lt_i32_e32 0, v9
	s_xor_b32 s0, exec_lo, s0
	s_cbranch_execz .LBB0_16
; %bb.3:
	s_mov_b32 s1, exec_lo
	v_cmpx_lt_i32_e32 2, v9
	s_xor_b32 s1, exec_lo, s1
	s_cbranch_execz .LBB0_8
; %bb.4:
	s_mov_b32 s4, exec_lo
	v_cmpx_eq_u32_e32 3, v9
	s_cbranch_execz .LBB0_7
; %bb.5:
	v_cmp_eq_u32_e32 vcc_lo, 0x60, v8
	s_and_b32 exec_lo, exec_lo, vcc_lo
; %bb.6:
	v_mov_b32_e32 v0, 0
	ds_store_b32 v0, v0 offset:16564
.LBB0_7:
	s_or_b32 exec_lo, exec_lo, s4
.LBB0_8:
	s_and_not1_saveexec_b32 s1, s1
	s_cbranch_execz .LBB0_15
; %bb.9:
	s_mov_b32 s4, exec_lo
	v_cmpx_eq_u32_e32 1, v9
	s_cbranch_execz .LBB0_14
; %bb.10:
	v_cmp_gt_u32_e32 vcc_lo, 40, v8
	s_and_b32 exec_lo, exec_lo, vcc_lo
	s_cbranch_execz .LBB0_14
; %bb.11:
	s_mov_b32 s5, exec_lo
	v_cmpx_eq_u32_e32 32, v8
; %bb.12:
	v_mov_b64_e32 v[0:1], 0
	v_mov_b32_e32 v2, 0
	ds_store_b64 v2, v[0:1] offset:21208
; %bb.13:
	s_or_b32 exec_lo, exec_lo, s5
	v_mov_b64_e32 v[0:1], 0
	v_mul_u32_u24_e32 v2, 0x160, v8
	ds_store_b64 v2, v[0:1] offset:6104
.LBB0_14:
	s_or_b32 exec_lo, exec_lo, s4
.LBB0_15:
	s_delay_alu instid0(SALU_CYCLE_1)
	s_or_b32 exec_lo, exec_lo, s1
.LBB0_16:
	s_and_not1_saveexec_b32 s6, s0
	s_cbranch_execz .LBB0_32
; %bb.17:
	s_load_b64 s[0:1], s[36:37], 0x8
	v_lshlrev_b64_e64 v[0:1], v8, 1
	s_mov_b32 s7, 0
	s_mov_b32 s5, exec_lo
	s_wait_kmcnt 0x0
	s_delay_alu instid0(VALU_DEP_1) | instskip(NEXT) | instid1(VALU_DEP_2)
	v_and_b32_e32 v3, s1, v1
	v_and_b32_e32 v2, s0, v0
	s_delay_alu instid0(VALU_DEP_1)
	v_cmp_eq_u64_e64 s4, 0, v[2:3]
	v_cmpx_ne_u64_e32 0, v[2:3]
	s_cbranch_execz .LBB0_19
; %bb.18:
	v_add_nc_u64_e32 v[0:1], -1, v[0:1]
	s_and_not1_b32 s4, s4, exec_lo
	s_mov_b32 s7, exec_lo
	s_delay_alu instid0(VALU_DEP_1) | instskip(NEXT) | instid1(VALU_DEP_2)
	v_and_b32_e32 v0, s0, v0
	v_and_b32_e32 v1, s1, v1
	s_delay_alu instid0(VALU_DEP_2) | instskip(NEXT) | instid1(VALU_DEP_1)
	v_bcnt_u32_b32 v0, v0, 0
	v_bcnt_u32_b32 v0, v1, v0
	s_delay_alu instid0(VALU_DEP_1) | instskip(SKIP_1) | instid1(SALU_CYCLE_1)
	v_cmp_ne_u32_e32 vcc_lo, s2, v0
	s_and_b32 s8, vcc_lo, exec_lo
	s_or_b32 s4, s4, s8
.LBB0_19:
	s_or_b32 exec_lo, exec_lo, s5
	v_dual_mov_b32 v0, 0 :: v_dual_mov_b32 v4, v8
	s_and_saveexec_b32 s8, s4
	s_cbranch_execz .LBB0_29
; %bb.20:
	v_add_nc_u32_e32 v4, 32, v8
	s_mov_b32 s5, exec_lo
	s_delay_alu instid0(VALU_DEP_1) | instskip(NEXT) | instid1(VALU_DEP_1)
	v_lshlrev_b64_e64 v[2:3], v4, 1
	v_and_b32_e32 v7, s1, v3
	s_delay_alu instid0(VALU_DEP_2) | instskip(SKIP_1) | instid1(VALU_DEP_2)
	v_and_b32_e32 v6, s0, v2
	v_add_nc_u64_e32 v[0:1], -1, v[2:3]
	v_cmp_eq_u64_e64 s4, 0, v[6:7]
	v_cmpx_ne_u64_e32 0, v[6:7]
	s_cbranch_execz .LBB0_24
; %bb.21:
	v_and_b32_e32 v5, s0, v0
	v_and_b32_e32 v6, s1, v1
	s_mov_b32 s9, -1
	s_mov_b32 s10, exec_lo
	s_delay_alu instid0(VALU_DEP_2) | instskip(NEXT) | instid1(VALU_DEP_1)
	v_bcnt_u32_b32 v5, v5, 0
	v_bcnt_u32_b32 v6, v6, v5
	v_mov_b32_e32 v5, 0
	s_delay_alu instid0(VALU_DEP_2)
	v_cmpx_eq_u32_e64 s2, v6
; %bb.22:
	s_xor_b32 s9, exec_lo, -1
	ds_store_b32 v5, v4 offset:16560
; %bb.23:
	s_or_b32 exec_lo, exec_lo, s10
	s_delay_alu instid0(SALU_CYCLE_1) | instskip(SKIP_1) | instid1(SALU_CYCLE_1)
	s_and_not1_b32 s4, s4, exec_lo
	s_and_b32 s9, s9, exec_lo
	s_or_b32 s4, s4, s9
.LBB0_24:
	s_or_b32 exec_lo, exec_lo, s5
	s_mov_b32 s5, 0
                                        ; implicit-def: $sgpr10
	s_and_saveexec_b32 s9, s4
	s_cbranch_execz .LBB0_28
; %bb.25:
	s_load_b64 s[4:5], s[36:37], 0x10
	s_mov_b32 s12, 0
	s_mov_b32 s11, exec_lo
                                        ; implicit-def: $sgpr10
	s_wait_kmcnt 0x0
	v_and_b32_e32 v3, s5, v3
	v_and_b32_e32 v2, s4, v2
	s_delay_alu instid0(VALU_DEP_1)
	v_cmpx_ne_u64_e32 0, v[2:3]
	s_xor_b32 s11, exec_lo, s11
	s_cbranch_execz .LBB0_27
; %bb.26:
	v_and_b32_e32 v0, s4, v0
	s_bcnt1_i32_b64 s10, s[0:1]
	v_and_b32_e32 v1, s5, v1
	s_delay_alu instid0(VALU_DEP_2) | instskip(NEXT) | instid1(VALU_DEP_1)
	v_bcnt_u32_b32 v0, v0, 0
	v_bcnt_u32_b32 v0, v1, v0
	s_delay_alu instid0(VALU_DEP_1) | instskip(NEXT) | instid1(VALU_DEP_1)
	v_add_nc_u32_e32 v0, s10, v0
	v_cmp_eq_u32_e32 vcc_lo, s2, v0
	s_and_b32 s12, vcc_lo, exec_lo
.LBB0_27:
	s_or_b32 exec_lo, exec_lo, s11
	s_delay_alu instid0(SALU_CYCLE_1)
	s_and_b32 s5, s12, exec_lo
.LBB0_28:
	s_or_b32 exec_lo, exec_lo, s9
	v_mov_b32_e32 v0, s10
	s_and_not1_b32 s0, s7, exec_lo
	s_and_b32 s1, s5, exec_lo
	s_delay_alu instid0(SALU_CYCLE_1)
	s_or_b32 s7, s0, s1
.LBB0_29:
	s_or_b32 exec_lo, exec_lo, s8
	s_and_saveexec_b32 s0, s7
; %bb.30:
	v_dual_mov_b32 v1, 0 :: v_dual_add_nc_u32 v0, v0, v4
	ds_store_b32 v1, v0 offset:16560
; %bb.31:
	s_or_b32 exec_lo, exec_lo, s0
.LBB0_32:
	s_delay_alu instid0(SALU_CYCLE_1)
	s_or_b32 exec_lo, exec_lo, s6
	v_cmp_eq_u32_e64 s33, 0, v8
	s_wait_dscnt 0x0
	s_barrier_signal -1
	s_barrier_wait -1
	s_and_saveexec_b32 s0, s33
	s_cbranch_execz .LBB0_34
; %bb.33:
	v_mov_b32_e32 v4, 0
	ds_load_b32 v0, v4 offset:16560
	ds_load_b64 v[2:3], v4 offset:16512
	s_wait_dscnt 0x1
	v_ashrrev_i32_e32 v1, 31, v0
	s_delay_alu instid0(VALU_DEP_1) | instskip(SKIP_1) | instid1(VALU_DEP_1)
	v_mul_u64_e32 v[0:1], 0x180, v[0:1]
	s_wait_dscnt 0x0
	v_add_nc_u64_e32 v[0:1], v[2:3], v[0:1]
	flat_load_b64 v[0:1], v[0:1] offset:464
	ds_store_b32 v4, v4 offset:16564
	s_wait_loadcnt_dscnt 0x1
	ds_store_b64 v4, v[0:1] offset:17040
.LBB0_34:
	s_or_b32 exec_lo, exec_lo, s0
	s_wait_kmcnt 0x0
	s_and_b32 s53, 0xffff, s3
	s_mov_b32 s0, exec_lo
	v_cmpx_lt_i32_e32 0, v9
	s_xor_b32 s6, exec_lo, s0
	s_cbranch_execz .LBB0_71
; %bb.35:
	s_mov_b32 s0, exec_lo
	v_cmpx_ne_u32_e32 1, v9
	s_xor_b32 s7, exec_lo, s0
	s_cbranch_execz .LBB0_66
; %bb.36:
	v_subrev_nc_u32_e32 v16, 64, v8
	v_mul_u32_u24_e32 v11, 0x810, v9
	v_mov_b32_e32 v15, 0
	s_sub_co_i32 s8, s53, 64
	s_mov_b32 s9, 0
	v_lshrrev_b16 v0, 11, v16
	s_delay_alu instid0(VALU_DEP_1) | instskip(NEXT) | instid1(VALU_DEP_1)
	v_add_nc_u16 v0, v16, v0
	v_and_b32_e32 v0, 0xffffffe0, v0
	s_delay_alu instid0(VALU_DEP_1) | instskip(NEXT) | instid1(VALU_DEP_1)
	v_sub_nc_u16 v10, v16, v0
	v_and_b32_e32 v0, 0xffff, v10
	v_add_nc_u16 v12, v10, 32
	s_delay_alu instid0(VALU_DEP_2)
	v_lshlrev_b32_e64 v13, v0, 1
	v_bfm_b32 v14, v0, 0
                                        ; implicit-def: $vgpr0_vgpr1_vgpr2_vgpr3
	s_branch .LBB0_39
.LBB0_37:                               ;   in Loop: Header=BB0_39 Depth=1
	s_or_b32 exec_lo, exec_lo, s5
	v_mov_b32_e32 v4, v16
	s_mov_b32 s5, s2
.LBB0_38:                               ;   in Loop: Header=BB0_39 Depth=1
	s_delay_alu instid0(VALU_DEP_1)
	v_mov_b32_e32 v16, v4
	s_and_not1_b32 vcc_lo, exec_lo, s1
	s_mov_b32 s2, s5
	s_cbranch_vccz .LBB0_66
.LBB0_39:                               ; =>This Inner Loop Header: Depth=1
	s_ashr_i32 s3, s2, 31
	s_delay_alu instid0(SALU_CYCLE_1)
	s_lshl_b64 s[0:1], s[2:3], 4
	s_mov_b32 s3, exec_lo
	s_add_nc_u64 s[4:5], s[36:37], s[0:1]
	s_load_b64 s[0:1], s[4:5], 0x38
	s_wait_kmcnt 0x0
	v_and_b32_e32 v4, s0, v13
	s_delay_alu instid0(VALU_DEP_1)
	v_cmpx_ne_u32_e32 0, v4
; %bb.40:                               ;   in Loop: Header=BB0_39 Depth=1
	v_and_b32_e32 v4, s0, v14
	s_delay_alu instid0(VALU_DEP_1)
	v_bcnt_u32_b32 v4, v4, v11
	ds_store_b8 v4, v10
; %bb.41:                               ;   in Loop: Header=BB0_39 Depth=1
	s_or_b32 exec_lo, exec_lo, s3
	s_wait_xcnt 0x0
	s_load_b64 s[4:5], s[4:5], 0x30
	v_and_b32_e32 v4, s1, v13
	s_bcnt1_i32_b32 s0, s0
	s_mov_b32 s3, exec_lo
	s_delay_alu instid0(VALU_DEP_1)
	v_cmpx_ne_u32_e32 0, v4
	s_cbranch_execz .LBB0_43
; %bb.42:                               ;   in Loop: Header=BB0_39 Depth=1
	v_and_b32_e32 v4, s1, v14
	s_delay_alu instid0(VALU_DEP_1) | instskip(NEXT) | instid1(VALU_DEP_1)
	v_bcnt_u32_b32 v4, v4, 0
	v_add3_u32 v4, v11, s0, v4
	ds_store_b8 v4, v12
.LBB0_43:                               ;   in Loop: Header=BB0_39 Depth=1
	s_or_b32 exec_lo, exec_lo, s3
	s_bcnt1_i32_b32 s10, s1
	s_wait_kmcnt 0x0
	s_bfe_u32 s3, s4, 0x2000f
	s_add_co_i32 s10, s10, s0
	s_cmp_lt_i32 s3, 1
	s_mov_b32 s0, -1
                                        ; implicit-def: $vgpr17
                                        ; implicit-def: $vgpr18
                                        ; implicit-def: $vgpr4
                                        ; implicit-def: $vgpr19
	s_cbranch_scc1 .LBB0_51
; %bb.44:                               ;   in Loop: Header=BB0_39 Depth=1
	s_cmp_lg_u32 s3, 1
                                        ; implicit-def: $vgpr17
                                        ; implicit-def: $vgpr18
                                        ; implicit-def: $vgpr4
	s_cbranch_scc0 .LBB0_46
; %bb.45:                               ;   in Loop: Header=BB0_39 Depth=1
	v_mul_hi_i32 v4, 0x66666667, v16
	s_mov_b32 s0, 0
	s_delay_alu instid0(VALU_DEP_1) | instskip(NEXT) | instid1(VALU_DEP_1)
	v_dual_lshrrev_b32 v5, 31, v4 :: v_dual_ashrrev_i32 v4, 3, v4
	v_add_nc_u32_e32 v17, v4, v5
	v_mul_u32_u24_e64 v4, s10, 20
	s_delay_alu instid0(VALU_DEP_2) | instskip(NEXT) | instid1(VALU_DEP_1)
	v_mul_lo_u32 v5, v17, 20
	v_sub_nc_u32_e32 v18, v16, v5
.LBB0_46:                               ;   in Loop: Header=BB0_39 Depth=1
	s_and_not1_b32 vcc_lo, exec_lo, s0
	s_movk_i32 s0, 0x140
	s_cbranch_vccnz .LBB0_48
; %bb.47:                               ;   in Loop: Header=BB0_39 Depth=1
	v_ashrrev_i32_e32 v4, 31, v16
	s_lshl_b32 s0, s10, 3
	s_delay_alu instid0(VALU_DEP_1) | instskip(NEXT) | instid1(VALU_DEP_1)
	v_lshrrev_b32_e32 v4, 29, v4
	v_add_nc_u32_e32 v4, v16, v4
	s_delay_alu instid0(VALU_DEP_1) | instskip(SKIP_2) | instid1(VALU_DEP_2)
	v_dual_ashrrev_i32 v17, 3, v4 :: v_dual_bitop2_b32 v5, -8, v4 bitop3:0x40
	v_mov_b32_e32 v4, s0
	s_movk_i32 s0, 0x80
	v_sub_nc_u32_e32 v18, v16, v5
.LBB0_48:                               ;   in Loop: Header=BB0_39 Depth=1
	v_mov_b32_e32 v19, s0
	s_cbranch_execz .LBB0_52
.LBB0_49:                               ;   in Loop: Header=BB0_39 Depth=1
	v_cmp_eq_u32_e64 s0, 0, v16
	s_and_saveexec_b32 s1, s0
	s_cbranch_execz .LBB0_53
.LBB0_50:                               ;   in Loop: Header=BB0_39 Depth=1
	ds_store_b32 v15, v19 offset:17072
	s_or_b32 exec_lo, exec_lo, s1
	s_delay_alu instid0(SALU_CYCLE_1)
	s_mov_b32 s11, exec_lo
	v_cmpx_lt_i32_e64 v16, v4
	s_cbranch_execz .LBB0_61
	s_branch .LBB0_54
.LBB0_51:                               ;   in Loop: Header=BB0_39 Depth=1
	s_and_not1_b32 vcc_lo, exec_lo, s0
	s_cbranch_vccnz .LBB0_49
.LBB0_52:                               ;   in Loop: Header=BB0_39 Depth=1
	v_dual_mov_b32 v19, 64 :: v_dual_ashrrev_i32 v4, 31, v16
	s_lshl_b32 s0, s10, 2
	s_delay_alu instid0(VALU_DEP_1) | instskip(NEXT) | instid1(VALU_DEP_1)
	v_lshrrev_b32_e32 v4, 30, v4
	v_add_nc_u32_e32 v4, v16, v4
	s_delay_alu instid0(VALU_DEP_1) | instskip(NEXT) | instid1(VALU_DEP_1)
	v_dual_ashrrev_i32 v17, 2, v4 :: v_dual_bitop2_b32 v5, -4, v4 bitop3:0x40
	v_dual_mov_b32 v4, s0 :: v_dual_sub_nc_u32 v18, v16, v5
	v_cmp_eq_u32_e64 s0, 0, v16
	s_and_saveexec_b32 s1, s0
	s_cbranch_execnz .LBB0_50
.LBB0_53:                               ;   in Loop: Header=BB0_39 Depth=1
	s_or_b32 exec_lo, exec_lo, s1
	s_delay_alu instid0(SALU_CYCLE_1)
	s_mov_b32 s11, exec_lo
	v_cmpx_lt_i32_e64 v16, v4
	s_cbranch_execz .LBB0_61
.LBB0_54:                               ;   in Loop: Header=BB0_39 Depth=1
	ds_load_u8 v4, v15 offset:16536
	v_add_nc_u32_e32 v5, v11, v17
	ds_load_u8 v21, v5
	s_wait_dscnt 0x1
	v_cmp_ne_u32_e64 s1, 0, v4
	s_and_b32 vcc_lo, exec_lo, s1
	s_cbranch_vccz .LBB0_57
; %bb.55:                               ;   in Loop: Header=BB0_39 Depth=1
	s_and_b32 vcc_lo, exec_lo, s1
	s_mov_b32 s1, -1
                                        ; implicit-def: $vgpr4_vgpr5_vgpr6_vgpr7
                                        ; implicit-def: $vgpr20
	s_cbranch_vccz .LBB0_58
.LBB0_56:                               ;   in Loop: Header=BB0_39 Depth=1
	ds_load_b32 v6, v15 offset:16540
	ds_load_b64 v[4:5], v15 offset:16544
	s_wait_dscnt 0x2
	v_mul_u32_u24_e32 v7, v19, v21
	v_lshlrev_b32_e32 v20, 4, v18
	s_delay_alu instid0(VALU_DEP_1) | instskip(SKIP_1) | instid1(VALU_DEP_1)
	v_add3_u32 v7, v20, s5, v7
	s_wait_dscnt 0x1
	v_and_b32_e32 v6, v6, v7
	s_wait_dscnt 0x0
	v_readfirstlane_b32 s12, v4
	v_readfirstlane_b32 s13, v5
	flat_load_b128 v[4:7], v6, s[12:13]
	s_cbranch_execz .LBB0_59
	s_branch .LBB0_60
.LBB0_57:                               ;   in Loop: Header=BB0_39 Depth=1
	s_wait_dscnt 0x0
	v_mul_u32_u24_e32 v0, v19, v21
	v_lshlrev_b32_e32 v1, 4, v18
	s_delay_alu instid0(VALU_DEP_1)
	v_add3_u32 v0, v1, s5, v0
	global_load_b128 v[0:3], v0, s[36:37]
	s_and_b32 vcc_lo, exec_lo, s1
	s_mov_b32 s1, -1
                                        ; implicit-def: $vgpr4_vgpr5_vgpr6_vgpr7
                                        ; implicit-def: $vgpr20
	s_cbranch_vccnz .LBB0_56
.LBB0_58:                               ;   in Loop: Header=BB0_39 Depth=1
	s_and_not1_b32 vcc_lo, exec_lo, s1
	s_cbranch_vccnz .LBB0_60
.LBB0_59:                               ;   in Loop: Header=BB0_39 Depth=1
	s_wait_loadcnt_dscnt 0x0
	s_wait_xcnt 0x0
	v_mov_b64_e32 v[6:7], v[2:3]
	v_mov_b64_e32 v[4:5], v[0:1]
	v_lshlrev_b32_e32 v20, 4, v18
.LBB0_60:                               ;   in Loop: Header=BB0_39 Depth=1
	s_wait_loadcnt 0x0
	s_wait_xcnt 0x0
	v_add_nc_u32_e32 v0, s9, v17
	s_delay_alu instid0(VALU_DEP_1)
	v_mad_u32 v17, v0, v19, v20
	s_wait_dscnt 0x0
	v_mov_b64_e32 v[0:1], v[4:5]
	v_mov_b64_e32 v[2:3], v[6:7]
	ds_store_b128 v17, v[4:7] offset:20176
.LBB0_61:                               ;   in Loop: Header=BB0_39 Depth=1
	s_or_b32 exec_lo, exec_lo, s11
	s_bitcmp0_b32 s4, 14
	s_wait_xcnt 0x0
	v_readfirstlane_b32 s5, v0
	s_cselect_b32 s1, -1, 0
	s_mov_b32 s11, -1
	s_and_b32 vcc_lo, exec_lo, s1
                                        ; implicit-def: $vgpr4
	s_cbranch_vccnz .LBB0_63
; %bb.62:                               ;   in Loop: Header=BB0_39 Depth=1
	v_cmp_gt_i32_e32 vcc_lo, 64, v16
	s_and_b32 s5, s4, 0x3fff
	s_delay_alu instid0(SALU_CYCLE_1) | instskip(SKIP_1) | instid1(VALU_DEP_1)
	s_add_co_i32 s5, s5, s2
	v_cndmask_b32_e64 v4, 0, s8, vcc_lo
	v_add3_u32 v4, v16, v4, 0xffffffc0
	s_add_co_i32 s9, s10, s9
	s_cbranch_execnz .LBB0_38
	s_branch .LBB0_64
.LBB0_63:                               ;   in Loop: Header=BB0_39 Depth=1
	s_and_not1_b32 vcc_lo, exec_lo, s11
	s_add_co_i32 s9, s10, s9
	s_cbranch_vccnz .LBB0_38
.LBB0_64:                               ;   in Loop: Header=BB0_39 Depth=1
	s_and_saveexec_b32 s5, s0
	s_cbranch_execz .LBB0_37
; %bb.65:                               ;   in Loop: Header=BB0_39 Depth=1
	s_and_b32 s0, s4, 0x3fff
	v_dual_mov_b32 v4, s2 :: v_dual_mov_b32 v6, s3
	s_add_co_i32 s10, s0, s2
	s_cmp_lg_u32 s0, 0
	v_mov_b32_e32 v7, s9
	s_cselect_b32 s0, s10, -1
	s_delay_alu instid0(SALU_CYCLE_1) | instskip(SKIP_1) | instid1(SALU_CYCLE_1)
	v_dual_mov_b32 v16, 0 :: v_dual_mov_b32 v5, s0
	s_lshr_b32 s0, s4, 17
	v_mov_b32_e32 v17, s0
	ds_store_b64 v15, v[4:5] offset:17056
	ds_store_b8 v15, v6 offset:17064
	ds_store_b32 v15, v7 offset:17068
	ds_store_b16 v15, v17 offset:17066
	s_branch .LBB0_37
.LBB0_66:
	s_and_not1_saveexec_b32 s0, s7
	s_cbranch_execz .LBB0_70
; %bb.67:
	s_mov_b32 s1, exec_lo
	v_cmpx_gt_u32_e32 56, v8
	s_cbranch_execz .LBB0_69
; %bb.68:
	v_dual_mov_b32 v2, 0 :: v_dual_lshlrev_b32 v4, 4, v8
	ds_load_b32 v0, v2 offset:16560
	s_wait_dscnt 0x0
	v_ashrrev_i32_e32 v1, 31, v0
	ds_load_b64 v[2:3], v2 offset:16512
	v_mul_u64_e32 v[0:1], 0x180, v[0:1]
	s_wait_dscnt 0x0
	s_delay_alu instid0(VALU_DEP_1) | instskip(NEXT) | instid1(VALU_DEP_1)
	v_add_nc_u64_e32 v[0:1], v[2:3], v[0:1]
	v_readfirstlane_b32 s2, v0
	s_delay_alu instid0(VALU_DEP_2)
	v_readfirstlane_b32 s3, v1
	flat_load_b128 v[0:3], v8, s[2:3] offset:-416 scale_offset
	s_wait_loadcnt_dscnt 0x0
	ds_store_b128 v4, v[0:3] offset:16160
.LBB0_69:
	s_or_b32 exec_lo, exec_lo, s1
.LBB0_70:
	s_delay_alu instid0(SALU_CYCLE_1)
	s_or_b32 exec_lo, exec_lo, s0
.LBB0_71:
	s_and_not1_saveexec_b32 s0, s6
	s_cbranch_execz .LBB0_75
; %bb.72:
	s_mov_b32 s1, exec_lo
	v_cmpx_gt_u32_e32 6, v8
	s_cbranch_execz .LBB0_74
; %bb.73:
	v_dual_mov_b32 v0, 0 :: v_dual_lshlrev_b32 v4, 4, v8
	ds_load_b64 v[0:1], v0 offset:16512
	s_wait_dscnt 0x0
	v_readfirstlane_b32 s2, v0
	v_readfirstlane_b32 s3, v1
	flat_load_b128 v[0:3], v8, s[2:3] scale_offset
	s_wait_loadcnt_dscnt 0x0
	ds_store_b128 v4, v[0:3] offset:16576
.LBB0_74:
	s_or_b32 exec_lo, exec_lo, s1
.LBB0_75:
	s_delay_alu instid0(SALU_CYCLE_1)
	s_or_b32 exec_lo, exec_lo, s0
	v_mov_b32_e32 v41, 0
	s_wait_dscnt 0x0
	s_barrier_signal -1
	s_barrier_wait -1
	ds_load_b32 v0, v41 offset:16564
	s_wait_dscnt 0x0
	v_cmp_ne_u32_e32 vcc_lo, 0, v0
	s_cbranch_vccz .LBB0_88
.LBB0_76:
	s_and_saveexec_b32 s0, s33
	s_cbranch_execz .LBB0_87
; %bb.77:
	v_mov_b32_e32 v8, 0
	ds_load_b32 v2, v8 offset:17068
	ds_load_b64 v[4:5], v8 offset:17040
	s_wait_dscnt 0x1
	v_ashrrev_i32_e32 v3, 31, v2
	s_wait_dscnt 0x0
	v_add_nc_u64_e32 v[0:1], 1, v[4:5]
	s_delay_alu instid0(VALU_DEP_2) | instskip(NEXT) | instid1(VALU_DEP_1)
	v_add_nc_u64_e32 v[6:7], v[4:5], v[2:3]
	v_cmp_gt_u64_e32 vcc_lo, v[0:1], v[6:7]
	s_cbranch_vccnz .LBB0_86
; %bb.78:
	ds_load_u8 v9, v8 offset:17064
	s_movk_i32 s0, 0x4f0e
	s_movk_i32 s1, 0x4eda
	s_branch .LBB0_80
.LBB0_79:                               ;   in Loop: Header=BB0_80 Depth=1
	s_wait_dscnt 0x0
	v_ashrrev_i32_e32 v3, 31, v2
	v_add_nc_u64_e32 v[0:1], 1, v[0:1]
	s_add_co_i32 s0, s0, 64
	s_addk_co_i32 s1, 0x80
	s_delay_alu instid0(VALU_DEP_2) | instskip(NEXT) | instid1(VALU_DEP_1)
	v_add_nc_u64_e32 v[6:7], v[4:5], v[2:3]
	v_cmp_le_u64_e32 vcc_lo, v[0:1], v[6:7]
	s_cbranch_vccz .LBB0_86
.LBB0_80:                               ; =>This Inner Loop Header: Depth=1
	s_wait_dscnt 0x0
	v_and_b32_e32 v3, 0xff, v9
	s_delay_alu instid0(VALU_DEP_1)
	v_cmp_ne_u32_e32 vcc_lo, 0, v3
	s_cbranch_vccz .LBB0_85
; %bb.81:                               ;   in Loop: Header=BB0_80 Depth=1
	v_mov_b32_e32 v3, s1
	ds_load_u8 v3, v3
	s_wait_dscnt 0x0
	v_and_b32_e32 v3, 1, v3
	s_cbranch_execnz .LBB0_83
.LBB0_82:                               ;   in Loop: Header=BB0_80 Depth=1
	v_mov_b32_e32 v3, s0
	ds_load_u16 v3, v3
	s_wait_dscnt 0x0
	v_bfe_u32 v3, v3, 6, 1
.LBB0_83:                               ;   in Loop: Header=BB0_80 Depth=1
	s_delay_alu instid0(VALU_DEP_1)
	v_cmp_eq_u32_e32 vcc_lo, 0, v3
	s_cbranch_vccnz .LBB0_79
; %bb.84:                               ;   in Loop: Header=BB0_80 Depth=1
	s_sendmsg_rtn_b64 s[2:3], sendmsg(MSG_RTN_GET_REALTIME)
	ds_load_u8 v9, v8 offset:17064
	ds_load_b32 v2, v8 offset:16560
	ds_load_b64 v[4:5], v8 offset:16664
	s_wait_dscnt 0x1
	v_dual_ashrrev_i32 v3, 31, v2 :: v_dual_bitop2_b32 v6, 63, v0 bitop3:0x40
	s_delay_alu instid0(VALU_DEP_1) | instskip(SKIP_1) | instid1(VALU_DEP_1)
	v_lshlrev_b64_e32 v[2:3], 10, v[2:3]
	s_wait_dscnt 0x0
	v_add_nc_u64_e32 v[4:5], v[4:5], v[2:3]
	s_wait_kmcnt 0x0
	v_dual_mov_b32 v2, s2 :: v_dual_mov_b32 v3, s3
	s_delay_alu instid0(VALU_DEP_2) | instskip(NEXT) | instid1(VALU_DEP_3)
	v_readfirstlane_b32 s2, v4
	v_readfirstlane_b32 s3, v5
	flat_store_b128 v6, v[0:3], s[2:3] scale_offset
	ds_load_b64 v[4:5], v8 offset:17040
	s_wait_xcnt 0x0
	ds_load_b32 v2, v8 offset:17068
	s_branch .LBB0_79
.LBB0_85:                               ;   in Loop: Header=BB0_80 Depth=1
                                        ; implicit-def: $vgpr3
	s_branch .LBB0_82
.LBB0_86:
	v_mov_b32_e32 v4, 0
	ds_load_b32 v0, v4 offset:16560
	ds_load_b64 v[2:3], v4 offset:16512
	s_wait_dscnt 0x1
	v_ashrrev_i32_e32 v1, 31, v0
	ds_store_b64 v4, v[6:7] offset:17040
	v_mul_u64_e32 v[0:1], 0x180, v[0:1]
	s_wait_dscnt 0x1
	s_delay_alu instid0(VALU_DEP_1)
	v_add_nc_u64_e32 v[0:1], v[2:3], v[0:1]
	flat_store_b64 v[0:1], v[6:7] offset:464
.LBB0_87:
	s_endpgm
.LBB0_88:
	s_get_pc_i64 s[2:3]
	s_add_nc_u64 s[2:3], s[2:3], _Z50ncclDevFunc_AlltoAllPivot_RING_SIMPLE_Sum_i8_0_0_1v@rel64+4
                                        ; implicit-def: $vgpr58 : SGPR spill to VGPR lane
	v_and_b32_e32 v44, 31, v8
	v_writelane_b32 v58, s2, 0
	s_movk_i32 s1, 0x160
	v_cmp_eq_u32_e64 s52, 32, v8
	v_mad_u32_u24 v45, v8, s1, 0x17d8
	v_mul_u32_u24_e32 v46, 0x810, v9
	v_writelane_b32 v58, s3, 1
	s_get_pc_i64 s[2:3]
	s_add_nc_u64 s[2:3], s[2:3], _Z45ncclDevFunc_SendRecv_RING_SIMPLE_Sum_i8_0_0_1v@rel64+4
	v_lshlrev_b32_e64 v47, v8, 1
	v_bfm_b32 v56, v44, 0
	v_or_b32_e32 v57, 32, v44
	v_writelane_b32 v58, s2, 2
	v_cmp_eq_u32_e32 vcc_lo, 1, v9
	v_cmp_gt_u32_e64 s0, 40, v8
	s_get_pc_i64 s[64:65]
	s_add_nc_u64 s[64:65], s[64:65], _Z52ncclDevFunc_AllReduce_RING_SIMPLE_PreMulSum_u8_0_0_1v@rel64+4
	s_get_pc_i64 s[66:67]
	s_add_nc_u64 s[66:67], s[66:67], _Z53ncclDevFunc_AllReduce_RING_SIMPLE_MinMax_f8e5m2_0_0_1v@rel64+4
	v_writelane_b32 v58, s3, 3
	s_get_pc_i64 s[2:3]
	s_add_nc_u64 s[2:3], s[2:3], _Z54ncclDevFunc_AllReduce_RING_SIMPLE_SumPostDiv_u64_0_0_1v@rel64+4
	s_get_pc_i64 s[68:69]
	s_add_nc_u64 s[68:69], s[68:69], _Z53ncclDevFunc_AllReduce_RING_SIMPLE_MinMax_f8e4m3_0_0_1v@rel64+4
	v_writelane_b32 v58, s2, 4
	v_writelane_b32 v58, s3, 5
	s_get_pc_i64 s[2:3]
	s_add_nc_u64 s[2:3], s[2:3], _Z54ncclDevFunc_AllReduce_RING_SIMPLE_SumPostDiv_u32_0_0_1v@rel64+4
	s_delay_alu instid0(SALU_CYCLE_1) | instskip(SKIP_3) | instid1(SALU_CYCLE_1)
	v_writelane_b32 v58, s2, 6
	v_writelane_b32 v58, s3, 7
	s_get_pc_i64 s[2:3]
	s_add_nc_u64 s[2:3], s[2:3], _Z53ncclDevFunc_AllReduce_RING_SIMPLE_SumPostDiv_u8_0_0_1v@rel64+4
	v_writelane_b32 v58, s2, 8
	v_writelane_b32 v58, s3, 9
	s_get_pc_i64 s[2:3]
	s_add_nc_u64 s[2:3], s[2:3], _Z56ncclDevFunc_AllReduce_RING_SIMPLE_PreMulSum_f8e5m2_0_0_1v@rel64+4
	s_delay_alu instid0(SALU_CYCLE_1) | instskip(SKIP_3) | instid1(SALU_CYCLE_1)
	v_writelane_b32 v58, s2, 10
	v_writelane_b32 v58, s3, 11
	s_get_pc_i64 s[2:3]
	s_add_nc_u64 s[2:3], s[2:3], _Z56ncclDevFunc_AllReduce_RING_SIMPLE_PreMulSum_f8e4m3_0_0_1v@rel64+4
	v_writelane_b32 v58, s2, 12
	v_writelane_b32 v58, s3, 13
	s_get_pc_i64 s[2:3]
	s_add_nc_u64 s[2:3], s[2:3], _Z54ncclDevFunc_AllReduce_RING_SIMPLE_PreMulSum_bf16_0_1_1v@rel64+4
	s_delay_alu instid0(SALU_CYCLE_1) | instskip(SKIP_3) | instid1(SALU_CYCLE_1)
	v_writelane_b32 v58, s2, 14
	v_writelane_b32 v58, s3, 15
	s_get_pc_i64 s[2:3]
	s_add_nc_u64 s[2:3], s[2:3], _Z54ncclDevFunc_AllReduce_RING_SIMPLE_PreMulSum_bf16_0_0_1v@rel64+4
	v_writelane_b32 v58, s2, 16
	v_writelane_b32 v58, s3, 17
	s_get_pc_i64 s[2:3]
	s_add_nc_u64 s[2:3], s[2:3], _Z53ncclDevFunc_AllReduce_RING_SIMPLE_PreMulSum_f64_0_0_1v@rel64+4
	s_delay_alu instid0(SALU_CYCLE_1) | instskip(SKIP_3) | instid1(SALU_CYCLE_1)
	v_writelane_b32 v58, s2, 18
	v_writelane_b32 v58, s3, 19
	s_get_pc_i64 s[2:3]
	s_add_nc_u64 s[2:3], s[2:3], _Z53ncclDevFunc_AllReduce_RING_SIMPLE_PreMulSum_f32_0_0_1v@rel64+4
	v_writelane_b32 v58, s2, 20
	v_writelane_b32 v58, s3, 21
	s_get_pc_i64 s[2:3]
	s_add_nc_u64 s[2:3], s[2:3], _Z53ncclDevFunc_AllReduce_RING_SIMPLE_PreMulSum_f16_0_0_1v@rel64+4
	s_delay_alu instid0(SALU_CYCLE_1) | instskip(SKIP_3) | instid1(SALU_CYCLE_1)
	v_writelane_b32 v58, s2, 22
	v_writelane_b32 v58, s3, 23
	s_get_pc_i64 s[2:3]
	s_add_nc_u64 s[2:3], s[2:3], _Z53ncclDevFunc_AllReduce_RING_SIMPLE_PreMulSum_u64_0_0_1v@rel64+4
	v_writelane_b32 v58, s2, 24
	v_writelane_b32 v58, s3, 25
	s_get_pc_i64 s[2:3]
	s_add_nc_u64 s[2:3], s[2:3], _Z53ncclDevFunc_AllReduce_RING_SIMPLE_PreMulSum_u32_0_0_1v@rel64+4
	s_delay_alu instid0(SALU_CYCLE_1) | instskip(SKIP_3) | instid1(SALU_CYCLE_1)
	v_writelane_b32 v58, s2, 26
	v_writelane_b32 v58, s3, 27
	s_get_pc_i64 s[2:3]
	s_add_nc_u64 s[2:3], s[2:3], _Z51ncclDevFunc_AllReduce_RING_SIMPLE_MinMax_bf16_0_0_1v@rel64+4
	v_writelane_b32 v58, s2, 28
	v_writelane_b32 v58, s3, 29
	s_get_pc_i64 s[2:3]
	s_add_nc_u64 s[2:3], s[2:3], _Z51ncclDevFunc_AllReduce_RING_SIMPLE_MinMax_bf16_0_1_1v@rel64+4
	s_delay_alu instid0(SALU_CYCLE_1)
	v_writelane_b32 v58, s2, 30
	v_writelane_b32 v58, s3, 31
	s_or_saveexec_b32 s105, -1
	scratch_store_b32 off, v58, off         ; 4-byte Folded Spill
	s_wait_xcnt 0x0
	s_mov_b32 exec_lo, s105
	s_get_pc_i64 s[2:3]
	s_add_nc_u64 s[2:3], s[2:3], _Z50ncclDevFunc_AllReduce_RING_SIMPLE_MinMax_f64_0_0_1v@rel64+4
                                        ; implicit-def: $vgpr58 : SGPR spill to VGPR lane
	v_mov_b64_e32 v[42:43], 0
	v_writelane_b32 v58, s2, 0
	s_get_pc_i64 s[102:103]
	s_add_nc_u64 s[102:103], s[102:103], _Z50ncclDevFunc_AllReduce_RING_SIMPLE_MinMax_f16_0_0_1v@rel64+4
	s_get_pc_i64 s[54:55]
	s_add_nc_u64 s[54:55], s[54:55], _Z50ncclDevFunc_AllReduce_RING_SIMPLE_MinMax_u64_0_0_1v@rel64+4
	s_get_pc_i64 s[86:87]
	s_add_nc_u64 s[86:87], s[86:87], _Z51ncclDevFunc_AllReduce_RING_SIMPLE_Prod_f8e5m2_0_0_1v@rel64+4
	s_get_pc_i64 s[96:97]
	s_add_nc_u64 s[96:97], s[96:97], _Z51ncclDevFunc_AllReduce_RING_SIMPLE_Prod_f8e4m3_0_0_1v@rel64+4
	v_writelane_b32 v58, s3, 1
	s_get_pc_i64 s[2:3]
	s_add_nc_u64 s[2:3], s[2:3], _Z50ncclDevFunc_AllReduce_RING_SIMPLE_MinMax_f32_0_0_1v@rel64+4
	s_get_pc_i64 s[80:81]
	s_add_nc_u64 s[80:81], s[80:81], _Z48ncclDevFunc_AllReduce_RING_SIMPLE_Prod_f16_0_0_1v@rel64+4
	s_get_pc_i64 s[82:83]
	s_add_nc_u64 s[82:83], s[82:83], _Z47ncclDevFunc_AllReduce_RING_SIMPLE_Prod_u8_0_0_1v@rel64+4
	s_get_pc_i64 s[70:71]
	s_add_nc_u64 s[70:71], s[70:71], _Z50ncclDevFunc_AllReduce_RING_SIMPLE_Sum_f8e5m2_0_0_1v@rel64+4
	v_writelane_b32 v58, s2, 2
	s_get_pc_i64 s[84:85]
	s_add_nc_u64 s[84:85], s[84:85], _Z50ncclDevFunc_AllReduce_RING_SIMPLE_Sum_f8e4m3_0_0_1v@rel64+4
	s_get_pc_i64 s[98:99]
	s_add_nc_u64 s[98:99], s[98:99], _Z47ncclDevFunc_AllReduce_RING_SIMPLE_Sum_f64_0_0_1v@rel64+4
	v_writelane_b32 v58, s3, 3
	s_get_pc_i64 s[2:3]
	s_add_nc_u64 s[2:3], s[2:3], _Z50ncclDevFunc_AllReduce_RING_SIMPLE_MinMax_u32_0_0_1v@rel64+4
	s_delay_alu instid0(SALU_CYCLE_1) | instskip(SKIP_3) | instid1(SALU_CYCLE_1)
	v_writelane_b32 v58, s2, 4
	v_writelane_b32 v58, s3, 5
	s_get_pc_i64 s[2:3]
	s_add_nc_u64 s[2:3], s[2:3], _Z49ncclDevFunc_AllReduce_RING_SIMPLE_MinMax_u8_0_0_1v@rel64+4
	v_writelane_b32 v58, s2, 6
	v_writelane_b32 v58, s3, 7
	s_get_pc_i64 s[2:3]
	s_add_nc_u64 s[2:3], s[2:3], _Z49ncclDevFunc_AllReduce_RING_SIMPLE_Prod_bf16_0_0_1v@rel64+4
	s_delay_alu instid0(SALU_CYCLE_1) | instskip(SKIP_3) | instid1(SALU_CYCLE_1)
	v_writelane_b32 v58, s2, 8
	v_writelane_b32 v58, s3, 9
	s_get_pc_i64 s[2:3]
	s_add_nc_u64 s[2:3], s[2:3], _Z49ncclDevFunc_AllReduce_RING_SIMPLE_Prod_bf16_0_1_1v@rel64+4
	v_writelane_b32 v58, s2, 10
	v_writelane_b32 v58, s3, 11
	s_get_pc_i64 s[2:3]
	s_add_nc_u64 s[2:3], s[2:3], _Z48ncclDevFunc_AllReduce_RING_SIMPLE_Prod_f64_0_0_1v@rel64+4
	s_delay_alu instid0(SALU_CYCLE_1) | instskip(SKIP_3) | instid1(SALU_CYCLE_1)
	v_writelane_b32 v58, s2, 12
	v_writelane_b32 v58, s3, 13
	s_get_pc_i64 s[2:3]
	s_add_nc_u64 s[2:3], s[2:3], _Z48ncclDevFunc_AllReduce_RING_SIMPLE_Prod_f32_0_0_1v@rel64+4
	v_writelane_b32 v58, s2, 14
	v_writelane_b32 v58, s3, 15
	s_get_pc_i64 s[2:3]
	s_add_nc_u64 s[2:3], s[2:3], _Z48ncclDevFunc_AllReduce_RING_SIMPLE_Prod_u64_0_0_1v@rel64+4
	s_delay_alu instid0(SALU_CYCLE_1) | instskip(SKIP_3) | instid1(SALU_CYCLE_1)
	v_writelane_b32 v58, s2, 16
	v_writelane_b32 v58, s3, 17
	s_get_pc_i64 s[2:3]
	s_add_nc_u64 s[2:3], s[2:3], _Z48ncclDevFunc_AllReduce_RING_SIMPLE_Prod_u32_0_0_1v@rel64+4
	v_writelane_b32 v58, s2, 18
	v_writelane_b32 v58, s3, 19
	s_get_pc_i64 s[2:3]
	s_add_nc_u64 s[2:3], s[2:3], _Z48ncclDevFunc_AllReduce_RING_SIMPLE_Sum_bf16_0_0_1v@rel64+4
	s_delay_alu instid0(SALU_CYCLE_1) | instskip(SKIP_3) | instid1(SALU_CYCLE_1)
	v_writelane_b32 v58, s2, 20
	v_writelane_b32 v58, s3, 21
	s_get_pc_i64 s[2:3]
	s_add_nc_u64 s[2:3], s[2:3], _Z48ncclDevFunc_AllReduce_RING_SIMPLE_Sum_bf16_0_1_1v@rel64+4
	v_writelane_b32 v58, s2, 22
	v_writelane_b32 v58, s3, 23
	s_get_pc_i64 s[2:3]
	s_add_nc_u64 s[2:3], s[2:3], _Z47ncclDevFunc_AllReduce_RING_SIMPLE_Sum_f32_0_0_1v@rel64+4
	s_delay_alu instid0(SALU_CYCLE_1)
	v_writelane_b32 v58, s2, 24
	v_writelane_b32 v58, s3, 25
	s_or_saveexec_b32 s105, -1
	scratch_store_b32 off, v58, off offset:4 ; 4-byte Folded Spill
	s_wait_xcnt 0x0
	s_mov_b32 exec_lo, s105
	s_and_b32 s104, vcc_lo, s0
	s_add_nc_u64 s[50:51], s[36:37], 0x1000
	s_branch .LBB0_90
.LBB0_89:                               ;   in Loop: Header=BB0_90 Depth=1
	s_wait_storecnt_dscnt 0x0
	s_barrier_signal -1
	s_barrier_wait -1
	ds_load_b32 v0, v41 offset:16564
	s_wait_dscnt 0x0
	v_cmp_ne_u32_e64 s0, 0, v0
	s_and_b32 vcc_lo, exec_lo, s0
	s_cbranch_vccnz .LBB0_76
.LBB0_90:                               ; =>This Loop Header: Depth=1
                                        ;     Child Loop BB0_94 Depth 2
                                        ;     Child Loop BB0_585 Depth 2
	;; [unrolled: 1-line block ×3, first 2 shown]
	s_and_saveexec_b32 s0, s33
	s_cbranch_execz .LBB0_100
; %bb.91:                               ;   in Loop: Header=BB0_90 Depth=1
	ds_load_b32 v2, v41 offset:17068
	ds_load_b64 v[4:5], v41 offset:17040
	s_wait_dscnt 0x1
	v_ashrrev_i32_e32 v3, 31, v2
	s_wait_dscnt 0x0
	v_add_nc_u64_e32 v[0:1], 1, v[4:5]
	s_delay_alu instid0(VALU_DEP_2) | instskip(NEXT) | instid1(VALU_DEP_1)
	v_add_nc_u64_e32 v[6:7], v[4:5], v[2:3]
	v_cmp_gt_u64_e32 vcc_lo, v[0:1], v[6:7]
	s_cbranch_vccnz .LBB0_100
; %bb.92:                               ;   in Loop: Header=BB0_90 Depth=1
	ds_load_u8 v6, v41 offset:17064
	s_movk_i32 s1, 0x4f0e
	s_movk_i32 s2, 0x4eda
	s_branch .LBB0_94
.LBB0_93:                               ;   in Loop: Header=BB0_94 Depth=2
	s_wait_dscnt 0x0
	v_ashrrev_i32_e32 v3, 31, v2
	v_add_nc_u64_e32 v[0:1], 1, v[0:1]
	s_add_co_i32 s1, s1, 64
	s_addk_co_i32 s2, 0x80
	s_delay_alu instid0(VALU_DEP_2) | instskip(NEXT) | instid1(VALU_DEP_1)
	v_add_nc_u64_e32 v[8:9], v[4:5], v[2:3]
	v_cmp_le_u64_e32 vcc_lo, v[0:1], v[8:9]
	s_cbranch_vccz .LBB0_100
.LBB0_94:                               ;   Parent Loop BB0_90 Depth=1
                                        ; =>  This Inner Loop Header: Depth=2
	s_wait_dscnt 0x0
	v_and_b32_e32 v3, 0xff, v6
	s_delay_alu instid0(VALU_DEP_1)
	v_cmp_ne_u32_e32 vcc_lo, 0, v3
	s_cbranch_vccz .LBB0_99
; %bb.95:                               ;   in Loop: Header=BB0_94 Depth=2
	v_mov_b32_e32 v3, s2
	ds_load_u8 v3, v3
	s_wait_dscnt 0x0
	v_and_b32_e32 v3, 1, v3
	s_cbranch_execnz .LBB0_97
.LBB0_96:                               ;   in Loop: Header=BB0_94 Depth=2
	v_mov_b32_e32 v3, s1
	ds_load_u16 v3, v3
	s_wait_dscnt 0x0
	v_bfe_u32 v3, v3, 6, 1
.LBB0_97:                               ;   in Loop: Header=BB0_94 Depth=2
	s_delay_alu instid0(VALU_DEP_1)
	v_cmp_eq_u32_e32 vcc_lo, 0, v3
	s_cbranch_vccnz .LBB0_93
; %bb.98:                               ;   in Loop: Header=BB0_94 Depth=2
	s_sendmsg_rtn_b64 s[4:5], sendmsg(MSG_RTN_GET_REALTIME)
	ds_load_u8 v6, v41 offset:17064
	ds_load_b32 v2, v41 offset:16560
	ds_load_b64 v[4:5], v41 offset:16656
	s_wait_dscnt 0x1
	v_dual_ashrrev_i32 v3, 31, v2 :: v_dual_bitop2_b32 v7, 63, v0 bitop3:0x40
	s_delay_alu instid0(VALU_DEP_1) | instskip(SKIP_1) | instid1(VALU_DEP_1)
	v_lshlrev_b64_e32 v[2:3], 10, v[2:3]
	s_wait_dscnt 0x0
	v_add_nc_u64_e32 v[4:5], v[4:5], v[2:3]
	s_wait_kmcnt 0x0
	v_dual_mov_b32 v2, s4 :: v_dual_mov_b32 v3, s5
	s_delay_alu instid0(VALU_DEP_2) | instskip(NEXT) | instid1(VALU_DEP_3)
	v_readfirstlane_b32 s4, v4
	v_readfirstlane_b32 s5, v5
	flat_store_b128 v7, v[0:3], s[4:5] scale_offset
	ds_load_b64 v[4:5], v41 offset:17040
	s_wait_xcnt 0x0
	ds_load_b32 v2, v41 offset:17068
	s_branch .LBB0_93
.LBB0_99:                               ;   in Loop: Header=BB0_94 Depth=2
                                        ; implicit-def: $vgpr3
	s_branch .LBB0_96
.LBB0_100:                              ;   in Loop: Header=BB0_90 Depth=1
	s_or_b32 exec_lo, exec_lo, s0
	ds_load_u16 v0, v41 offset:17066
	s_mov_b32 s0, -1
	s_wait_dscnt 0x0
	v_and_b32_e32 v1, 0xffff, v0
	v_readfirstlane_b32 s100, v0
	s_delay_alu instid0(VALU_DEP_2)
	v_cmp_lt_u32_e32 vcc_lo, 0x58, v1
	s_cbranch_vccz .LBB0_265
; %bb.101:                              ;   in Loop: Header=BB0_90 Depth=1
	s_and_b32 s101, 0xffff, s100
	s_delay_alu instid0(SALU_CYCLE_1)
	s_cmp_gt_u32 s101, 0x85
	s_cbranch_scc0 .LBB0_180
; %bb.102:                              ;   in Loop: Header=BB0_90 Depth=1
	s_cmp_gt_u32 s101, 0x9b
	s_cbranch_scc0 .LBB0_142
; %bb.103:                              ;   in Loop: Header=BB0_90 Depth=1
	;; [unrolled: 3-line block ×6, first 2 shown]
	s_mov_b64 s[4:5], s[48:49]
	v_mov_b32_e32 v31, v40
	s_mov_b64 s[6:7], s[38:39]
	s_mov_b64 s[8:9], s[50:51]
	;; [unrolled: 1-line block ×3, first 2 shown]
	s_or_saveexec_b32 s105, -1
	scratch_load_b32 v58, off, off          ; 4-byte Folded Reload
	s_wait_xcnt 0x0
	s_mov_b32 exec_lo, s105
	s_wait_loadcnt 0x0
	v_readlane_b32 s0, v58, 0
	v_readlane_b32 s1, v58, 1
	s_swap_pc_i64 s[30:31], s[0:1]
	s_mov_b32 s0, 0
.LBB0_108:                              ;   in Loop: Header=BB0_90 Depth=1
	s_delay_alu instid0(SALU_CYCLE_1)
	s_and_not1_b32 vcc_lo, exec_lo, s0
	s_cbranch_vccnz .LBB0_110
; %bb.109:                              ;   in Loop: Header=BB0_90 Depth=1
	s_mov_b64 s[4:5], s[48:49]
	v_mov_b32_e32 v31, v40
	s_mov_b64 s[6:7], s[38:39]
	s_mov_b64 s[8:9], s[50:51]
	;; [unrolled: 1-line block ×3, first 2 shown]
	s_or_saveexec_b32 s105, -1
	scratch_load_b32 v58, off, off          ; 4-byte Folded Reload
	s_wait_xcnt 0x0
	s_mov_b32 exec_lo, s105
	s_wait_loadcnt 0x0
	v_readlane_b32 s0, v58, 2
	v_readlane_b32 s1, v58, 3
	s_swap_pc_i64 s[30:31], s[0:1]
.LBB0_110:                              ;   in Loop: Header=BB0_90 Depth=1
	s_mov_b32 s0, 0
.LBB0_111:                              ;   in Loop: Header=BB0_90 Depth=1
	s_delay_alu instid0(SALU_CYCLE_1)
	s_and_not1_b32 vcc_lo, exec_lo, s0
	s_cbranch_vccnz .LBB0_116
; %bb.112:                              ;   in Loop: Header=BB0_90 Depth=1
	s_cmp_lg_u32 s101, 0xad
	s_mov_b32 s0, -1
	s_cbranch_scc0 .LBB0_114
; %bb.113:                              ;   in Loop: Header=BB0_90 Depth=1
	s_mov_b64 s[4:5], s[48:49]
	v_mov_b32_e32 v31, v40
	s_mov_b64 s[6:7], s[38:39]
	s_mov_b64 s[8:9], s[50:51]
	;; [unrolled: 1-line block ×3, first 2 shown]
	s_or_saveexec_b32 s105, -1
	scratch_load_b32 v58, off, off          ; 4-byte Folded Reload
	s_wait_xcnt 0x0
	s_mov_b32 exec_lo, s105
	s_wait_loadcnt 0x0
	v_readlane_b32 s0, v58, 4
	v_readlane_b32 s1, v58, 5
	s_swap_pc_i64 s[30:31], s[0:1]
	s_mov_b32 s0, 0
.LBB0_114:                              ;   in Loop: Header=BB0_90 Depth=1
	s_delay_alu instid0(SALU_CYCLE_1)
	s_and_not1_b32 vcc_lo, exec_lo, s0
	s_cbranch_vccnz .LBB0_116
; %bb.115:                              ;   in Loop: Header=BB0_90 Depth=1
	s_mov_b64 s[4:5], s[48:49]
	v_mov_b32_e32 v31, v40
	s_mov_b64 s[6:7], s[38:39]
	s_mov_b64 s[8:9], s[50:51]
	;; [unrolled: 1-line block ×3, first 2 shown]
	s_or_saveexec_b32 s105, -1
	scratch_load_b32 v58, off, off          ; 4-byte Folded Reload
	s_wait_xcnt 0x0
	s_mov_b32 exec_lo, s105
	s_wait_loadcnt 0x0
	v_readlane_b32 s0, v58, 6
	v_readlane_b32 s1, v58, 7
	s_swap_pc_i64 s[30:31], s[0:1]
.LBB0_116:                              ;   in Loop: Header=BB0_90 Depth=1
	s_mov_b32 s0, 0
.LBB0_117:                              ;   in Loop: Header=BB0_90 Depth=1
	s_delay_alu instid0(SALU_CYCLE_1)
	s_and_not1_b32 vcc_lo, exec_lo, s0
	s_cbranch_vccnz .LBB0_125
; %bb.118:                              ;   in Loop: Header=BB0_90 Depth=1
	s_cmp_gt_u32 s101, 0xa9
	s_mov_b32 s0, -1
	s_cbranch_scc0 .LBB0_120
; %bb.119:                              ;   in Loop: Header=BB0_90 Depth=1
	s_mov_b64 s[4:5], s[48:49]
	v_mov_b32_e32 v31, v40
	s_mov_b64 s[6:7], s[38:39]
	s_mov_b64 s[8:9], s[50:51]
	;; [unrolled: 1-line block ×3, first 2 shown]
	s_or_saveexec_b32 s105, -1
	scratch_load_b32 v58, off, off          ; 4-byte Folded Reload
	s_wait_xcnt 0x0
	s_mov_b32 exec_lo, s105
	s_wait_loadcnt 0x0
	v_readlane_b32 s0, v58, 8
	v_readlane_b32 s1, v58, 9
	s_swap_pc_i64 s[30:31], s[0:1]
	s_mov_b32 s0, 0
.LBB0_120:                              ;   in Loop: Header=BB0_90 Depth=1
	s_delay_alu instid0(SALU_CYCLE_1)
	s_and_not1_b32 vcc_lo, exec_lo, s0
	s_cbranch_vccnz .LBB0_125
; %bb.121:                              ;   in Loop: Header=BB0_90 Depth=1
	s_cmp_lg_u32 s101, 0xa7
	s_mov_b32 s0, -1
	s_cbranch_scc0 .LBB0_123
; %bb.122:                              ;   in Loop: Header=BB0_90 Depth=1
	s_mov_b64 s[4:5], s[48:49]
	v_mov_b32_e32 v31, v40
	s_mov_b64 s[6:7], s[38:39]
	s_mov_b64 s[8:9], s[50:51]
	;; [unrolled: 1-line block ×3, first 2 shown]
	s_or_saveexec_b32 s105, -1
	scratch_load_b32 v58, off, off          ; 4-byte Folded Reload
	s_wait_xcnt 0x0
	s_mov_b32 exec_lo, s105
	s_wait_loadcnt 0x0
	v_readlane_b32 s0, v58, 10
	v_readlane_b32 s1, v58, 11
	s_swap_pc_i64 s[30:31], s[0:1]
	s_mov_b32 s0, 0
.LBB0_123:                              ;   in Loop: Header=BB0_90 Depth=1
	s_delay_alu instid0(SALU_CYCLE_1)
	s_and_not1_b32 vcc_lo, exec_lo, s0
	s_cbranch_vccnz .LBB0_125
; %bb.124:                              ;   in Loop: Header=BB0_90 Depth=1
	s_mov_b64 s[4:5], s[48:49]
	v_mov_b32_e32 v31, v40
	s_mov_b64 s[6:7], s[38:39]
	s_mov_b64 s[8:9], s[50:51]
	;; [unrolled: 1-line block ×3, first 2 shown]
	s_or_saveexec_b32 s105, -1
	scratch_load_b32 v58, off, off          ; 4-byte Folded Reload
	s_wait_xcnt 0x0
	s_mov_b32 exec_lo, s105
	s_wait_loadcnt 0x0
	v_readlane_b32 s0, v58, 12
	v_readlane_b32 s1, v58, 13
	s_swap_pc_i64 s[30:31], s[0:1]
.LBB0_125:                              ;   in Loop: Header=BB0_90 Depth=1
	s_mov_b32 s0, 0
.LBB0_126:                              ;   in Loop: Header=BB0_90 Depth=1
	s_delay_alu instid0(SALU_CYCLE_1)
	s_and_not1_b32 vcc_lo, exec_lo, s0
	s_cbranch_vccnz .LBB0_141
; %bb.127:                              ;   in Loop: Header=BB0_90 Depth=1
	s_cmp_gt_u32 s101, 0xa0
	s_mov_b32 s0, -1
	s_cbranch_scc0 .LBB0_136
; %bb.128:                              ;   in Loop: Header=BB0_90 Depth=1
	s_cmp_gt_u32 s101, 0xa3
	s_cbranch_scc0 .LBB0_130
; %bb.129:                              ;   in Loop: Header=BB0_90 Depth=1
	s_mov_b64 s[4:5], s[48:49]
	v_mov_b32_e32 v31, v40
	s_mov_b64 s[6:7], s[38:39]
	s_mov_b64 s[8:9], s[50:51]
	;; [unrolled: 1-line block ×3, first 2 shown]
	s_or_saveexec_b32 s105, -1
	scratch_load_b32 v58, off, off          ; 4-byte Folded Reload
	s_wait_xcnt 0x0
	s_mov_b32 exec_lo, s105
	s_wait_loadcnt 0x0
	v_readlane_b32 s0, v58, 14
	v_readlane_b32 s1, v58, 15
	s_swap_pc_i64 s[30:31], s[0:1]
	s_mov_b32 s0, 0
.LBB0_130:                              ;   in Loop: Header=BB0_90 Depth=1
	s_delay_alu instid0(SALU_CYCLE_1)
	s_and_not1_b32 vcc_lo, exec_lo, s0
	s_cbranch_vccnz .LBB0_135
; %bb.131:                              ;   in Loop: Header=BB0_90 Depth=1
	s_cmp_lg_u32 s101, 0xa1
	s_mov_b32 s0, -1
	s_cbranch_scc0 .LBB0_133
; %bb.132:                              ;   in Loop: Header=BB0_90 Depth=1
	s_mov_b64 s[4:5], s[48:49]
	v_mov_b32_e32 v31, v40
	s_mov_b64 s[6:7], s[38:39]
	s_mov_b64 s[8:9], s[50:51]
	s_mov_b64 s[10:11], s[34:35]
	s_or_saveexec_b32 s105, -1
	scratch_load_b32 v58, off, off          ; 4-byte Folded Reload
	s_wait_xcnt 0x0
	s_mov_b32 exec_lo, s105
	s_wait_loadcnt 0x0
	v_readlane_b32 s0, v58, 16
	v_readlane_b32 s1, v58, 17
	s_swap_pc_i64 s[30:31], s[0:1]
	s_mov_b32 s0, 0
.LBB0_133:                              ;   in Loop: Header=BB0_90 Depth=1
	s_delay_alu instid0(SALU_CYCLE_1)
	s_and_not1_b32 vcc_lo, exec_lo, s0
	s_cbranch_vccnz .LBB0_135
; %bb.134:                              ;   in Loop: Header=BB0_90 Depth=1
	s_mov_b64 s[4:5], s[48:49]
	v_mov_b32_e32 v31, v40
	s_mov_b64 s[6:7], s[38:39]
	s_mov_b64 s[8:9], s[50:51]
	;; [unrolled: 1-line block ×3, first 2 shown]
	s_or_saveexec_b32 s105, -1
	scratch_load_b32 v58, off, off          ; 4-byte Folded Reload
	s_wait_xcnt 0x0
	s_mov_b32 exec_lo, s105
	s_wait_loadcnt 0x0
	v_readlane_b32 s0, v58, 18
	v_readlane_b32 s1, v58, 19
	s_swap_pc_i64 s[30:31], s[0:1]
.LBB0_135:                              ;   in Loop: Header=BB0_90 Depth=1
	s_mov_b32 s0, 0
.LBB0_136:                              ;   in Loop: Header=BB0_90 Depth=1
	s_delay_alu instid0(SALU_CYCLE_1)
	s_and_not1_b32 vcc_lo, exec_lo, s0
	s_cbranch_vccnz .LBB0_141
; %bb.137:                              ;   in Loop: Header=BB0_90 Depth=1
	s_cmp_gt_u32 s101, 0x9d
	s_mov_b32 s0, -1
	s_cbranch_scc0 .LBB0_139
; %bb.138:                              ;   in Loop: Header=BB0_90 Depth=1
	s_mov_b64 s[4:5], s[48:49]
	v_mov_b32_e32 v31, v40
	s_mov_b64 s[6:7], s[38:39]
	s_mov_b64 s[8:9], s[50:51]
	;; [unrolled: 1-line block ×3, first 2 shown]
	s_or_saveexec_b32 s105, -1
	scratch_load_b32 v58, off, off          ; 4-byte Folded Reload
	s_wait_xcnt 0x0
	s_mov_b32 exec_lo, s105
	s_wait_loadcnt 0x0
	v_readlane_b32 s0, v58, 20
	v_readlane_b32 s1, v58, 21
	s_swap_pc_i64 s[30:31], s[0:1]
	s_mov_b32 s0, 0
.LBB0_139:                              ;   in Loop: Header=BB0_90 Depth=1
	s_delay_alu instid0(SALU_CYCLE_1)
	s_and_not1_b32 vcc_lo, exec_lo, s0
	s_cbranch_vccnz .LBB0_141
; %bb.140:                              ;   in Loop: Header=BB0_90 Depth=1
	s_mov_b64 s[4:5], s[48:49]
	v_mov_b32_e32 v31, v40
	s_mov_b64 s[6:7], s[38:39]
	s_mov_b64 s[8:9], s[50:51]
	;; [unrolled: 1-line block ×3, first 2 shown]
	s_or_saveexec_b32 s105, -1
	scratch_load_b32 v58, off, off          ; 4-byte Folded Reload
	s_wait_xcnt 0x0
	s_mov_b32 exec_lo, s105
	s_wait_loadcnt 0x0
	v_readlane_b32 s0, v58, 22
	v_readlane_b32 s1, v58, 23
	s_swap_pc_i64 s[30:31], s[0:1]
.LBB0_141:                              ;   in Loop: Header=BB0_90 Depth=1
	s_mov_b32 s0, 0
.LBB0_142:                              ;   in Loop: Header=BB0_90 Depth=1
	s_delay_alu instid0(SALU_CYCLE_1)
	s_and_not1_b32 vcc_lo, exec_lo, s0
	s_cbranch_vccnz .LBB0_179
; %bb.143:                              ;   in Loop: Header=BB0_90 Depth=1
	s_cmp_gt_u32 s101, 0x90
	s_mov_b32 s0, -1
	s_cbranch_scc0 .LBB0_160
; %bb.144:                              ;   in Loop: Header=BB0_90 Depth=1
	s_cmp_gt_u32 s101, 0x95
	s_cbranch_scc0 .LBB0_154
; %bb.145:                              ;   in Loop: Header=BB0_90 Depth=1
	s_cmp_gt_u32 s101, 0x98
	s_cbranch_scc0 .LBB0_151
; %bb.146:                              ;   in Loop: Header=BB0_90 Depth=1
	s_cmp_lg_u32 s101, 0x99
	s_cbranch_scc0 .LBB0_148
; %bb.147:                              ;   in Loop: Header=BB0_90 Depth=1
	s_mov_b64 s[4:5], s[48:49]
	v_mov_b32_e32 v31, v40
	s_mov_b64 s[6:7], s[38:39]
	s_mov_b64 s[8:9], s[50:51]
	;; [unrolled: 1-line block ×3, first 2 shown]
	s_or_saveexec_b32 s105, -1
	scratch_load_b32 v58, off, off          ; 4-byte Folded Reload
	s_wait_xcnt 0x0
	s_mov_b32 exec_lo, s105
	s_wait_loadcnt 0x0
	v_readlane_b32 s0, v58, 24
	v_readlane_b32 s1, v58, 25
	s_swap_pc_i64 s[30:31], s[0:1]
	s_mov_b32 s0, 0
.LBB0_148:                              ;   in Loop: Header=BB0_90 Depth=1
	s_delay_alu instid0(SALU_CYCLE_1)
	s_and_not1_b32 vcc_lo, exec_lo, s0
	s_cbranch_vccnz .LBB0_150
; %bb.149:                              ;   in Loop: Header=BB0_90 Depth=1
	s_mov_b64 s[4:5], s[48:49]
	v_mov_b32_e32 v31, v40
	s_mov_b64 s[6:7], s[38:39]
	s_mov_b64 s[8:9], s[50:51]
	;; [unrolled: 1-line block ×3, first 2 shown]
	s_or_saveexec_b32 s105, -1
	scratch_load_b32 v58, off, off          ; 4-byte Folded Reload
	s_wait_xcnt 0x0
	s_mov_b32 exec_lo, s105
	s_wait_loadcnt 0x0
	v_readlane_b32 s0, v58, 26
	v_readlane_b32 s1, v58, 27
	s_swap_pc_i64 s[30:31], s[0:1]
.LBB0_150:                              ;   in Loop: Header=BB0_90 Depth=1
	s_mov_b32 s0, 0
.LBB0_151:                              ;   in Loop: Header=BB0_90 Depth=1
	s_delay_alu instid0(SALU_CYCLE_1)
	s_and_not1_b32 vcc_lo, exec_lo, s0
	s_cbranch_vccnz .LBB0_153
; %bb.152:                              ;   in Loop: Header=BB0_90 Depth=1
	v_mov_b32_e32 v31, v40
	s_mov_b64 s[4:5], s[48:49]
	s_mov_b64 s[6:7], s[38:39]
	;; [unrolled: 1-line block ×4, first 2 shown]
	s_swap_pc_i64 s[30:31], s[64:65]
.LBB0_153:                              ;   in Loop: Header=BB0_90 Depth=1
	s_mov_b32 s0, 0
.LBB0_154:                              ;   in Loop: Header=BB0_90 Depth=1
	s_delay_alu instid0(SALU_CYCLE_1)
	s_and_not1_b32 vcc_lo, exec_lo, s0
	s_cbranch_vccnz .LBB0_159
; %bb.155:                              ;   in Loop: Header=BB0_90 Depth=1
	s_cmp_gt_u32 s101, 0x93
	s_mov_b32 s0, -1
	s_cbranch_scc0 .LBB0_157
; %bb.156:                              ;   in Loop: Header=BB0_90 Depth=1
	v_mov_b32_e32 v31, v40
	s_mov_b64 s[4:5], s[48:49]
	s_mov_b64 s[6:7], s[38:39]
	;; [unrolled: 1-line block ×4, first 2 shown]
	s_swap_pc_i64 s[30:31], s[66:67]
	s_mov_b32 s0, 0
.LBB0_157:                              ;   in Loop: Header=BB0_90 Depth=1
	s_delay_alu instid0(SALU_CYCLE_1)
	s_and_not1_b32 vcc_lo, exec_lo, s0
	s_cbranch_vccnz .LBB0_159
; %bb.158:                              ;   in Loop: Header=BB0_90 Depth=1
	v_mov_b32_e32 v31, v40
	s_mov_b64 s[4:5], s[48:49]
	s_mov_b64 s[6:7], s[38:39]
	;; [unrolled: 1-line block ×4, first 2 shown]
	s_swap_pc_i64 s[30:31], s[68:69]
.LBB0_159:                              ;   in Loop: Header=BB0_90 Depth=1
	s_mov_b32 s0, 0
.LBB0_160:                              ;   in Loop: Header=BB0_90 Depth=1
	s_delay_alu instid0(SALU_CYCLE_1)
	s_and_not1_b32 vcc_lo, exec_lo, s0
	s_cbranch_vccnz .LBB0_179
; %bb.161:                              ;   in Loop: Header=BB0_90 Depth=1
	s_cmp_gt_u32 s101, 0x8a
	s_mov_b32 s0, -1
	s_cbranch_scc0 .LBB0_174
; %bb.162:                              ;   in Loop: Header=BB0_90 Depth=1
	s_cmp_gt_u32 s101, 0x8d
	s_cbranch_scc0 .LBB0_168
; %bb.163:                              ;   in Loop: Header=BB0_90 Depth=1
	s_cmp_eq_u32 s101, 0x90
	s_cbranch_scc1 .LBB0_165
; %bb.164:                              ;   in Loop: Header=BB0_90 Depth=1
	s_mov_b64 s[4:5], s[48:49]
	v_mov_b32_e32 v31, v40
	s_mov_b64 s[6:7], s[38:39]
	s_mov_b64 s[8:9], s[50:51]
	;; [unrolled: 1-line block ×3, first 2 shown]
	s_or_saveexec_b32 s105, -1
	scratch_load_b32 v58, off, off          ; 4-byte Folded Reload
	s_wait_xcnt 0x0
	s_mov_b32 exec_lo, s105
	s_wait_loadcnt 0x0
	v_readlane_b32 s0, v58, 28
	v_readlane_b32 s1, v58, 29
	s_swap_pc_i64 s[30:31], s[0:1]
	s_mov_b32 s0, 0
.LBB0_165:                              ;   in Loop: Header=BB0_90 Depth=1
	s_delay_alu instid0(SALU_CYCLE_1)
	s_and_not1_b32 vcc_lo, exec_lo, s0
	s_cbranch_vccnz .LBB0_167
; %bb.166:                              ;   in Loop: Header=BB0_90 Depth=1
	s_mov_b64 s[4:5], s[48:49]
	v_mov_b32_e32 v31, v40
	s_mov_b64 s[6:7], s[38:39]
	s_mov_b64 s[8:9], s[50:51]
	;; [unrolled: 1-line block ×3, first 2 shown]
	s_or_saveexec_b32 s105, -1
	scratch_load_b32 v58, off, off          ; 4-byte Folded Reload
	s_wait_xcnt 0x0
	s_mov_b32 exec_lo, s105
	s_wait_loadcnt 0x0
	v_readlane_b32 s0, v58, 30
	v_readlane_b32 s1, v58, 31
	s_swap_pc_i64 s[30:31], s[0:1]
.LBB0_167:                              ;   in Loop: Header=BB0_90 Depth=1
	s_mov_b32 s0, 0
.LBB0_168:                              ;   in Loop: Header=BB0_90 Depth=1
	s_delay_alu instid0(SALU_CYCLE_1)
	s_and_not1_b32 vcc_lo, exec_lo, s0
	s_cbranch_vccnz .LBB0_173
; %bb.169:                              ;   in Loop: Header=BB0_90 Depth=1
	s_cmp_lg_u32 s101, 0x8b
	s_mov_b32 s0, -1
	s_cbranch_scc0 .LBB0_171
; %bb.170:                              ;   in Loop: Header=BB0_90 Depth=1
	s_mov_b64 s[4:5], s[48:49]
	v_mov_b32_e32 v31, v40
	s_mov_b64 s[6:7], s[38:39]
	s_mov_b64 s[8:9], s[50:51]
	;; [unrolled: 1-line block ×3, first 2 shown]
	s_or_saveexec_b32 s105, -1
	scratch_load_b32 v58, off, off offset:4 ; 4-byte Folded Reload
	s_wait_xcnt 0x0
	s_mov_b32 exec_lo, s105
	s_wait_loadcnt 0x0
	v_readlane_b32 s0, v58, 0
	v_readlane_b32 s1, v58, 1
	s_swap_pc_i64 s[30:31], s[0:1]
	s_mov_b32 s0, 0
.LBB0_171:                              ;   in Loop: Header=BB0_90 Depth=1
	s_delay_alu instid0(SALU_CYCLE_1)
	s_and_not1_b32 vcc_lo, exec_lo, s0
	s_cbranch_vccnz .LBB0_173
; %bb.172:                              ;   in Loop: Header=BB0_90 Depth=1
	s_mov_b64 s[4:5], s[48:49]
	v_mov_b32_e32 v31, v40
	s_mov_b64 s[6:7], s[38:39]
	s_mov_b64 s[8:9], s[50:51]
	;; [unrolled: 1-line block ×3, first 2 shown]
	s_or_saveexec_b32 s105, -1
	scratch_load_b32 v58, off, off offset:4 ; 4-byte Folded Reload
	s_wait_xcnt 0x0
	s_mov_b32 exec_lo, s105
	s_wait_loadcnt 0x0
	v_readlane_b32 s0, v58, 2
	v_readlane_b32 s1, v58, 3
	s_swap_pc_i64 s[30:31], s[0:1]
.LBB0_173:                              ;   in Loop: Header=BB0_90 Depth=1
	s_mov_b32 s0, 0
.LBB0_174:                              ;   in Loop: Header=BB0_90 Depth=1
	s_delay_alu instid0(SALU_CYCLE_1)
	s_and_not1_b32 vcc_lo, exec_lo, s0
	s_cbranch_vccnz .LBB0_179
; %bb.175:                              ;   in Loop: Header=BB0_90 Depth=1
	s_cmp_gt_u32 s101, 0x87
	s_mov_b32 s0, -1
	s_cbranch_scc0 .LBB0_177
; %bb.176:                              ;   in Loop: Header=BB0_90 Depth=1
	v_mov_b32_e32 v31, v40
	s_mov_b64 s[4:5], s[48:49]
	s_mov_b64 s[6:7], s[38:39]
	s_mov_b64 s[8:9], s[50:51]
	s_mov_b64 s[10:11], s[34:35]
	s_swap_pc_i64 s[30:31], s[102:103]
	s_mov_b32 s0, 0
.LBB0_177:                              ;   in Loop: Header=BB0_90 Depth=1
	s_delay_alu instid0(SALU_CYCLE_1)
	s_and_not1_b32 vcc_lo, exec_lo, s0
	s_cbranch_vccnz .LBB0_179
; %bb.178:                              ;   in Loop: Header=BB0_90 Depth=1
	v_mov_b32_e32 v31, v40
	s_mov_b64 s[4:5], s[48:49]
	s_mov_b64 s[6:7], s[38:39]
	;; [unrolled: 1-line block ×4, first 2 shown]
	s_swap_pc_i64 s[30:31], s[54:55]
.LBB0_179:                              ;   in Loop: Header=BB0_90 Depth=1
	s_mov_b32 s0, 0
.LBB0_180:                              ;   in Loop: Header=BB0_90 Depth=1
	s_delay_alu instid0(SALU_CYCLE_1)
	s_and_not1_b32 vcc_lo, exec_lo, s0
	s_cbranch_vccnz .LBB0_264
; %bb.181:                              ;   in Loop: Header=BB0_90 Depth=1
	s_cmp_gt_u32 s101, 0x6e
	s_mov_b32 s0, -1
	s_cbranch_scc0 .LBB0_223
; %bb.182:                              ;   in Loop: Header=BB0_90 Depth=1
	s_cmp_gt_u32 s101, 0x79
	s_cbranch_scc0 .LBB0_202
; %bb.183:                              ;   in Loop: Header=BB0_90 Depth=1
	s_cmp_gt_u32 s101, 0x7f
	;; [unrolled: 3-line block ×3, first 2 shown]
	s_cbranch_scc0 .LBB0_190
; %bb.185:                              ;   in Loop: Header=BB0_90 Depth=1
	s_cmp_lg_u32 s101, 0x83
	s_cbranch_scc0 .LBB0_187
; %bb.186:                              ;   in Loop: Header=BB0_90 Depth=1
	s_mov_b64 s[4:5], s[48:49]
	v_mov_b32_e32 v31, v40
	s_mov_b64 s[6:7], s[38:39]
	s_mov_b64 s[8:9], s[50:51]
	;; [unrolled: 1-line block ×3, first 2 shown]
	s_or_saveexec_b32 s105, -1
	scratch_load_b32 v58, off, off offset:4 ; 4-byte Folded Reload
	s_wait_xcnt 0x0
	s_mov_b32 exec_lo, s105
	s_wait_loadcnt 0x0
	v_readlane_b32 s0, v58, 4
	v_readlane_b32 s1, v58, 5
	s_swap_pc_i64 s[30:31], s[0:1]
	s_mov_b32 s0, 0
.LBB0_187:                              ;   in Loop: Header=BB0_90 Depth=1
	s_delay_alu instid0(SALU_CYCLE_1)
	s_and_not1_b32 vcc_lo, exec_lo, s0
	s_cbranch_vccnz .LBB0_189
; %bb.188:                              ;   in Loop: Header=BB0_90 Depth=1
	s_mov_b64 s[4:5], s[48:49]
	v_mov_b32_e32 v31, v40
	s_mov_b64 s[6:7], s[38:39]
	s_mov_b64 s[8:9], s[50:51]
	;; [unrolled: 1-line block ×3, first 2 shown]
	s_or_saveexec_b32 s105, -1
	scratch_load_b32 v58, off, off offset:4 ; 4-byte Folded Reload
	s_wait_xcnt 0x0
	s_mov_b32 exec_lo, s105
	s_wait_loadcnt 0x0
	v_readlane_b32 s0, v58, 6
	v_readlane_b32 s1, v58, 7
	s_swap_pc_i64 s[30:31], s[0:1]
.LBB0_189:                              ;   in Loop: Header=BB0_90 Depth=1
	s_mov_b32 s0, 0
.LBB0_190:                              ;   in Loop: Header=BB0_90 Depth=1
	s_delay_alu instid0(SALU_CYCLE_1)
	s_and_not1_b32 vcc_lo, exec_lo, s0
	s_cbranch_vccnz .LBB0_192
; %bb.191:                              ;   in Loop: Header=BB0_90 Depth=1
	v_mov_b32_e32 v31, v40
	s_mov_b64 s[4:5], s[48:49]
	s_mov_b64 s[6:7], s[38:39]
	;; [unrolled: 1-line block ×4, first 2 shown]
	s_swap_pc_i64 s[30:31], s[86:87]
.LBB0_192:                              ;   in Loop: Header=BB0_90 Depth=1
	s_mov_b32 s0, 0
.LBB0_193:                              ;   in Loop: Header=BB0_90 Depth=1
	s_delay_alu instid0(SALU_CYCLE_1)
	s_and_not1_b32 vcc_lo, exec_lo, s0
	s_cbranch_vccnz .LBB0_201
; %bb.194:                              ;   in Loop: Header=BB0_90 Depth=1
	s_cmp_gt_u32 s101, 0x7c
	s_mov_b32 s0, -1
	s_cbranch_scc0 .LBB0_196
; %bb.195:                              ;   in Loop: Header=BB0_90 Depth=1
	v_mov_b32_e32 v31, v40
	s_mov_b64 s[4:5], s[48:49]
	s_mov_b64 s[6:7], s[38:39]
	;; [unrolled: 1-line block ×4, first 2 shown]
	s_swap_pc_i64 s[30:31], s[96:97]
	s_mov_b32 s0, 0
.LBB0_196:                              ;   in Loop: Header=BB0_90 Depth=1
	s_delay_alu instid0(SALU_CYCLE_1)
	s_and_not1_b32 vcc_lo, exec_lo, s0
	s_cbranch_vccnz .LBB0_201
; %bb.197:                              ;   in Loop: Header=BB0_90 Depth=1
	s_cmp_eq_u32 s101, 0x7c
	s_mov_b32 s0, -1
	s_cbranch_scc1 .LBB0_199
; %bb.198:                              ;   in Loop: Header=BB0_90 Depth=1
	s_mov_b64 s[4:5], s[48:49]
	v_mov_b32_e32 v31, v40
	s_mov_b64 s[6:7], s[38:39]
	s_mov_b64 s[8:9], s[50:51]
	;; [unrolled: 1-line block ×3, first 2 shown]
	s_or_saveexec_b32 s105, -1
	scratch_load_b32 v58, off, off offset:4 ; 4-byte Folded Reload
	s_wait_xcnt 0x0
	s_mov_b32 exec_lo, s105
	s_wait_loadcnt 0x0
	v_readlane_b32 s0, v58, 8
	v_readlane_b32 s1, v58, 9
	s_swap_pc_i64 s[30:31], s[0:1]
	s_mov_b32 s0, 0
.LBB0_199:                              ;   in Loop: Header=BB0_90 Depth=1
	s_delay_alu instid0(SALU_CYCLE_1)
	s_and_not1_b32 vcc_lo, exec_lo, s0
	s_cbranch_vccnz .LBB0_201
; %bb.200:                              ;   in Loop: Header=BB0_90 Depth=1
	s_mov_b64 s[4:5], s[48:49]
	v_mov_b32_e32 v31, v40
	s_mov_b64 s[6:7], s[38:39]
	s_mov_b64 s[8:9], s[50:51]
	;; [unrolled: 1-line block ×3, first 2 shown]
	s_or_saveexec_b32 s105, -1
	scratch_load_b32 v58, off, off offset:4 ; 4-byte Folded Reload
	s_wait_xcnt 0x0
	s_mov_b32 exec_lo, s105
	s_wait_loadcnt 0x0
	v_readlane_b32 s0, v58, 10
	v_readlane_b32 s1, v58, 11
	s_swap_pc_i64 s[30:31], s[0:1]
.LBB0_201:                              ;   in Loop: Header=BB0_90 Depth=1
	s_mov_b32 s0, 0
.LBB0_202:                              ;   in Loop: Header=BB0_90 Depth=1
	s_delay_alu instid0(SALU_CYCLE_1)
	s_and_not1_b32 vcc_lo, exec_lo, s0
	s_cbranch_vccnz .LBB0_222
; %bb.203:                              ;   in Loop: Header=BB0_90 Depth=1
	s_cmp_gt_u32 s101, 0x73
	s_mov_b32 s0, -1
	s_cbranch_scc0 .LBB0_213
; %bb.204:                              ;   in Loop: Header=BB0_90 Depth=1
	s_cmp_gt_u32 s101, 0x76
	s_cbranch_scc0 .LBB0_210
; %bb.205:                              ;   in Loop: Header=BB0_90 Depth=1
	s_cmp_lg_u32 s101, 0x77
	s_cbranch_scc0 .LBB0_207
; %bb.206:                              ;   in Loop: Header=BB0_90 Depth=1
	s_mov_b64 s[4:5], s[48:49]
	v_mov_b32_e32 v31, v40
	s_mov_b64 s[6:7], s[38:39]
	s_mov_b64 s[8:9], s[50:51]
	;; [unrolled: 1-line block ×3, first 2 shown]
	s_or_saveexec_b32 s105, -1
	scratch_load_b32 v58, off, off offset:4 ; 4-byte Folded Reload
	s_wait_xcnt 0x0
	s_mov_b32 exec_lo, s105
	s_wait_loadcnt 0x0
	v_readlane_b32 s0, v58, 12
	v_readlane_b32 s1, v58, 13
	s_swap_pc_i64 s[30:31], s[0:1]
	s_mov_b32 s0, 0
.LBB0_207:                              ;   in Loop: Header=BB0_90 Depth=1
	s_delay_alu instid0(SALU_CYCLE_1)
	s_and_not1_b32 vcc_lo, exec_lo, s0
	s_cbranch_vccnz .LBB0_209
; %bb.208:                              ;   in Loop: Header=BB0_90 Depth=1
	s_mov_b64 s[4:5], s[48:49]
	v_mov_b32_e32 v31, v40
	s_mov_b64 s[6:7], s[38:39]
	s_mov_b64 s[8:9], s[50:51]
	;; [unrolled: 1-line block ×3, first 2 shown]
	s_or_saveexec_b32 s105, -1
	scratch_load_b32 v58, off, off offset:4 ; 4-byte Folded Reload
	s_wait_xcnt 0x0
	s_mov_b32 exec_lo, s105
	s_wait_loadcnt 0x0
	v_readlane_b32 s0, v58, 14
	v_readlane_b32 s1, v58, 15
	s_swap_pc_i64 s[30:31], s[0:1]
.LBB0_209:                              ;   in Loop: Header=BB0_90 Depth=1
	s_mov_b32 s0, 0
.LBB0_210:                              ;   in Loop: Header=BB0_90 Depth=1
	s_delay_alu instid0(SALU_CYCLE_1)
	s_and_not1_b32 vcc_lo, exec_lo, s0
	s_cbranch_vccnz .LBB0_212
; %bb.211:                              ;   in Loop: Header=BB0_90 Depth=1
	v_mov_b32_e32 v31, v40
	s_mov_b64 s[4:5], s[48:49]
	s_mov_b64 s[6:7], s[38:39]
	;; [unrolled: 1-line block ×4, first 2 shown]
	s_swap_pc_i64 s[30:31], s[80:81]
.LBB0_212:                              ;   in Loop: Header=BB0_90 Depth=1
	s_mov_b32 s0, 0
.LBB0_213:                              ;   in Loop: Header=BB0_90 Depth=1
	s_delay_alu instid0(SALU_CYCLE_1)
	s_and_not1_b32 vcc_lo, exec_lo, s0
	s_cbranch_vccnz .LBB0_222
; %bb.214:                              ;   in Loop: Header=BB0_90 Depth=1
	s_cmp_gt_u32 s101, 0x70
	s_mov_b32 s0, -1
	s_cbranch_scc0 .LBB0_220
; %bb.215:                              ;   in Loop: Header=BB0_90 Depth=1
	s_cmp_lg_u32 s101, 0x71
	s_cbranch_scc0 .LBB0_217
; %bb.216:                              ;   in Loop: Header=BB0_90 Depth=1
	s_mov_b64 s[4:5], s[48:49]
	v_mov_b32_e32 v31, v40
	s_mov_b64 s[6:7], s[38:39]
	s_mov_b64 s[8:9], s[50:51]
	;; [unrolled: 1-line block ×3, first 2 shown]
	s_or_saveexec_b32 s105, -1
	scratch_load_b32 v58, off, off offset:4 ; 4-byte Folded Reload
	s_wait_xcnt 0x0
	s_mov_b32 exec_lo, s105
	s_wait_loadcnt 0x0
	v_readlane_b32 s0, v58, 16
	v_readlane_b32 s1, v58, 17
	s_swap_pc_i64 s[30:31], s[0:1]
	s_mov_b32 s0, 0
.LBB0_217:                              ;   in Loop: Header=BB0_90 Depth=1
	s_delay_alu instid0(SALU_CYCLE_1)
	s_and_not1_b32 vcc_lo, exec_lo, s0
	s_cbranch_vccnz .LBB0_219
; %bb.218:                              ;   in Loop: Header=BB0_90 Depth=1
	s_mov_b64 s[4:5], s[48:49]
	v_mov_b32_e32 v31, v40
	s_mov_b64 s[6:7], s[38:39]
	s_mov_b64 s[8:9], s[50:51]
	;; [unrolled: 1-line block ×3, first 2 shown]
	s_or_saveexec_b32 s105, -1
	scratch_load_b32 v58, off, off offset:4 ; 4-byte Folded Reload
	s_wait_xcnt 0x0
	s_mov_b32 exec_lo, s105
	s_wait_loadcnt 0x0
	v_readlane_b32 s0, v58, 18
	v_readlane_b32 s1, v58, 19
	s_swap_pc_i64 s[30:31], s[0:1]
.LBB0_219:                              ;   in Loop: Header=BB0_90 Depth=1
	s_mov_b32 s0, 0
.LBB0_220:                              ;   in Loop: Header=BB0_90 Depth=1
	s_delay_alu instid0(SALU_CYCLE_1)
	s_and_not1_b32 vcc_lo, exec_lo, s0
	s_cbranch_vccnz .LBB0_222
; %bb.221:                              ;   in Loop: Header=BB0_90 Depth=1
	v_mov_b32_e32 v31, v40
	s_mov_b64 s[4:5], s[48:49]
	s_mov_b64 s[6:7], s[38:39]
	;; [unrolled: 1-line block ×4, first 2 shown]
	s_swap_pc_i64 s[30:31], s[82:83]
.LBB0_222:                              ;   in Loop: Header=BB0_90 Depth=1
	s_mov_b32 s0, 0
.LBB0_223:                              ;   in Loop: Header=BB0_90 Depth=1
	s_delay_alu instid0(SALU_CYCLE_1)
	s_and_not1_b32 vcc_lo, exec_lo, s0
	s_cbranch_vccnz .LBB0_264
; %bb.224:                              ;   in Loop: Header=BB0_90 Depth=1
	s_cmp_gt_u32 s101, 0x63
	s_mov_b32 s0, -1
	s_cbranch_scc0 .LBB0_241
; %bb.225:                              ;   in Loop: Header=BB0_90 Depth=1
	s_cmp_gt_u32 s101, 0x68
	s_cbranch_scc0 .LBB0_231
; %bb.226:                              ;   in Loop: Header=BB0_90 Depth=1
	s_cmp_gt_u32 s101, 0x6b
	s_cbranch_scc0 .LBB0_228
; %bb.227:                              ;   in Loop: Header=BB0_90 Depth=1
	v_mov_b32_e32 v31, v40
	s_mov_b64 s[4:5], s[48:49]
	s_mov_b64 s[6:7], s[38:39]
	;; [unrolled: 1-line block ×4, first 2 shown]
	s_swap_pc_i64 s[30:31], s[70:71]
	s_mov_b32 s0, 0
.LBB0_228:                              ;   in Loop: Header=BB0_90 Depth=1
	s_delay_alu instid0(SALU_CYCLE_1)
	s_and_not1_b32 vcc_lo, exec_lo, s0
	s_cbranch_vccnz .LBB0_230
; %bb.229:                              ;   in Loop: Header=BB0_90 Depth=1
	v_mov_b32_e32 v31, v40
	s_mov_b64 s[4:5], s[48:49]
	s_mov_b64 s[6:7], s[38:39]
	;; [unrolled: 1-line block ×4, first 2 shown]
	s_swap_pc_i64 s[30:31], s[84:85]
.LBB0_230:                              ;   in Loop: Header=BB0_90 Depth=1
	s_mov_b32 s0, 0
.LBB0_231:                              ;   in Loop: Header=BB0_90 Depth=1
	s_delay_alu instid0(SALU_CYCLE_1)
	s_and_not1_b32 vcc_lo, exec_lo, s0
	s_cbranch_vccnz .LBB0_240
; %bb.232:                              ;   in Loop: Header=BB0_90 Depth=1
	s_cmp_gt_u32 s101, 0x65
	s_mov_b32 s0, -1
	s_cbranch_scc0 .LBB0_238
; %bb.233:                              ;   in Loop: Header=BB0_90 Depth=1
	s_cmp_eq_u32 s101, 0x68
	s_cbranch_scc1 .LBB0_235
; %bb.234:                              ;   in Loop: Header=BB0_90 Depth=1
	s_mov_b64 s[4:5], s[48:49]
	v_mov_b32_e32 v31, v40
	s_mov_b64 s[6:7], s[38:39]
	s_mov_b64 s[8:9], s[50:51]
	;; [unrolled: 1-line block ×3, first 2 shown]
	s_or_saveexec_b32 s105, -1
	scratch_load_b32 v58, off, off offset:4 ; 4-byte Folded Reload
	s_wait_xcnt 0x0
	s_mov_b32 exec_lo, s105
	s_wait_loadcnt 0x0
	v_readlane_b32 s0, v58, 20
	v_readlane_b32 s1, v58, 21
	s_swap_pc_i64 s[30:31], s[0:1]
	s_mov_b32 s0, 0
.LBB0_235:                              ;   in Loop: Header=BB0_90 Depth=1
	s_delay_alu instid0(SALU_CYCLE_1)
	s_and_not1_b32 vcc_lo, exec_lo, s0
	s_cbranch_vccnz .LBB0_237
; %bb.236:                              ;   in Loop: Header=BB0_90 Depth=1
	s_mov_b64 s[4:5], s[48:49]
	v_mov_b32_e32 v31, v40
	s_mov_b64 s[6:7], s[38:39]
	s_mov_b64 s[8:9], s[50:51]
	;; [unrolled: 1-line block ×3, first 2 shown]
	s_or_saveexec_b32 s105, -1
	scratch_load_b32 v58, off, off offset:4 ; 4-byte Folded Reload
	s_wait_xcnt 0x0
	s_mov_b32 exec_lo, s105
	s_wait_loadcnt 0x0
	v_readlane_b32 s0, v58, 22
	v_readlane_b32 s1, v58, 23
	s_swap_pc_i64 s[30:31], s[0:1]
.LBB0_237:                              ;   in Loop: Header=BB0_90 Depth=1
	s_mov_b32 s0, 0
.LBB0_238:                              ;   in Loop: Header=BB0_90 Depth=1
	s_delay_alu instid0(SALU_CYCLE_1)
	s_and_not1_b32 vcc_lo, exec_lo, s0
	s_cbranch_vccnz .LBB0_240
; %bb.239:                              ;   in Loop: Header=BB0_90 Depth=1
	v_mov_b32_e32 v31, v40
	s_mov_b64 s[4:5], s[48:49]
	s_mov_b64 s[6:7], s[38:39]
	;; [unrolled: 1-line block ×4, first 2 shown]
	s_swap_pc_i64 s[30:31], s[98:99]
.LBB0_240:                              ;   in Loop: Header=BB0_90 Depth=1
	s_mov_b32 s0, 0
.LBB0_241:                              ;   in Loop: Header=BB0_90 Depth=1
	s_delay_alu instid0(SALU_CYCLE_1)
	s_and_not1_b32 vcc_lo, exec_lo, s0
	s_cbranch_vccnz .LBB0_264
; %bb.242:                              ;   in Loop: Header=BB0_90 Depth=1
	s_cmp_gt_u32 s101, 0x5d
	s_mov_b32 s0, -1
	s_cbranch_scc0 .LBB0_252
; %bb.243:                              ;   in Loop: Header=BB0_90 Depth=1
	s_cmp_gt_u32 s101, 0x60
	s_cbranch_scc0 .LBB0_249
; %bb.244:                              ;   in Loop: Header=BB0_90 Depth=1
	s_cmp_lg_u32 s101, 0x61
	s_cbranch_scc0 .LBB0_246
; %bb.245:                              ;   in Loop: Header=BB0_90 Depth=1
	s_mov_b64 s[4:5], s[48:49]
	v_mov_b32_e32 v31, v40
	s_mov_b64 s[6:7], s[38:39]
	s_mov_b64 s[8:9], s[50:51]
	;; [unrolled: 1-line block ×3, first 2 shown]
	s_or_saveexec_b32 s105, -1
	scratch_load_b32 v58, off, off offset:4 ; 4-byte Folded Reload
	s_wait_xcnt 0x0
	s_mov_b32 exec_lo, s105
	s_wait_loadcnt 0x0
	v_readlane_b32 s0, v58, 24
	v_readlane_b32 s1, v58, 25
	s_swap_pc_i64 s[30:31], s[0:1]
	s_mov_b32 s0, 0
.LBB0_246:                              ;   in Loop: Header=BB0_90 Depth=1
	s_delay_alu instid0(SALU_CYCLE_1)
	s_and_not1_b32 vcc_lo, exec_lo, s0
	s_cbranch_vccnz .LBB0_248
; %bb.247:                              ;   in Loop: Header=BB0_90 Depth=1
	v_mov_b32_e32 v31, v40
	s_get_pc_i64 s[0:1]
	s_add_nc_u64 s[0:1], s[0:1], _Z47ncclDevFunc_AllReduce_RING_SIMPLE_Sum_f16_0_0_1v@rel64+4
	s_mov_b64 s[4:5], s[48:49]
	s_mov_b64 s[6:7], s[38:39]
	;; [unrolled: 1-line block ×4, first 2 shown]
	s_swap_pc_i64 s[30:31], s[0:1]
.LBB0_248:                              ;   in Loop: Header=BB0_90 Depth=1
	s_mov_b32 s0, 0
.LBB0_249:                              ;   in Loop: Header=BB0_90 Depth=1
	s_delay_alu instid0(SALU_CYCLE_1)
	s_and_not1_b32 vcc_lo, exec_lo, s0
	s_cbranch_vccnz .LBB0_251
; %bb.250:                              ;   in Loop: Header=BB0_90 Depth=1
	v_mov_b32_e32 v31, v40
	s_get_pc_i64 s[0:1]
	s_add_nc_u64 s[0:1], s[0:1], _Z47ncclDevFunc_AllReduce_RING_SIMPLE_Sum_u64_0_0_1v@rel64+4
	s_mov_b64 s[4:5], s[48:49]
	s_mov_b64 s[6:7], s[38:39]
	;; [unrolled: 1-line block ×4, first 2 shown]
	s_swap_pc_i64 s[30:31], s[0:1]
.LBB0_251:                              ;   in Loop: Header=BB0_90 Depth=1
	s_mov_b32 s0, 0
.LBB0_252:                              ;   in Loop: Header=BB0_90 Depth=1
	s_delay_alu instid0(SALU_CYCLE_1)
	s_and_not1_b32 vcc_lo, exec_lo, s0
	s_cbranch_vccnz .LBB0_264
; %bb.253:                              ;   in Loop: Header=BB0_90 Depth=1
	s_cmp_gt_u32 s101, 0x5a
	s_mov_b32 s0, -1
	s_cbranch_scc0 .LBB0_259
; %bb.254:                              ;   in Loop: Header=BB0_90 Depth=1
	s_cmp_lg_u32 s101, 0x5b
	s_cbranch_scc0 .LBB0_256
; %bb.255:                              ;   in Loop: Header=BB0_90 Depth=1
	v_mov_b32_e32 v31, v40
	s_get_pc_i64 s[0:1]
	s_add_nc_u64 s[0:1], s[0:1], _Z47ncclDevFunc_AllReduce_RING_SIMPLE_Sum_u32_0_0_1v@rel64+4
	s_mov_b64 s[4:5], s[48:49]
	s_mov_b64 s[6:7], s[38:39]
	;; [unrolled: 1-line block ×4, first 2 shown]
	s_swap_pc_i64 s[30:31], s[0:1]
	s_mov_b32 s0, 0
.LBB0_256:                              ;   in Loop: Header=BB0_90 Depth=1
	s_delay_alu instid0(SALU_CYCLE_1)
	s_and_not1_b32 vcc_lo, exec_lo, s0
	s_cbranch_vccnz .LBB0_258
; %bb.257:                              ;   in Loop: Header=BB0_90 Depth=1
	v_mov_b32_e32 v31, v40
	s_get_pc_i64 s[0:1]
	s_add_nc_u64 s[0:1], s[0:1], _Z46ncclDevFunc_AllReduce_RING_SIMPLE_Sum_u8_0_0_1v@rel64+4
	s_mov_b64 s[4:5], s[48:49]
	s_mov_b64 s[6:7], s[38:39]
	;; [unrolled: 1-line block ×4, first 2 shown]
	s_swap_pc_i64 s[30:31], s[0:1]
.LBB0_258:                              ;   in Loop: Header=BB0_90 Depth=1
	s_mov_b32 s0, 0
.LBB0_259:                              ;   in Loop: Header=BB0_90 Depth=1
	s_delay_alu instid0(SALU_CYCLE_1)
	s_and_not1_b32 vcc_lo, exec_lo, s0
	s_cbranch_vccnz .LBB0_264
; %bb.260:                              ;   in Loop: Header=BB0_90 Depth=1
	s_cmp_eq_u32 s101, 0x5a
	s_mov_b32 s0, -1
	s_cbranch_scc1 .LBB0_262
; %bb.261:                              ;   in Loop: Header=BB0_90 Depth=1
	v_mov_b32_e32 v31, v40
	s_get_pc_i64 s[0:1]
	s_add_nc_u64 s[0:1], s[0:1], _Z54ncclDevFunc_ReduceScatter_RING_LL_SumPostDiv_u32_0_0_1v@rel64+4
	s_mov_b64 s[4:5], s[48:49]
	s_mov_b64 s[6:7], s[38:39]
	;; [unrolled: 1-line block ×4, first 2 shown]
	s_swap_pc_i64 s[30:31], s[0:1]
	s_mov_b32 s0, 0
.LBB0_262:                              ;   in Loop: Header=BB0_90 Depth=1
	s_delay_alu instid0(SALU_CYCLE_1)
	s_and_not1_b32 vcc_lo, exec_lo, s0
	s_cbranch_vccnz .LBB0_264
; %bb.263:                              ;   in Loop: Header=BB0_90 Depth=1
	v_mov_b32_e32 v31, v40
	s_get_pc_i64 s[0:1]
	s_add_nc_u64 s[0:1], s[0:1], _Z54ncclDevFunc_ReduceScatter_RING_LL_SumPostDiv_u64_0_0_1v@rel64+4
	s_mov_b64 s[4:5], s[48:49]
	s_mov_b64 s[6:7], s[38:39]
	s_mov_b64 s[8:9], s[50:51]
	s_mov_b64 s[10:11], s[34:35]
	s_swap_pc_i64 s[30:31], s[0:1]
.LBB0_264:                              ;   in Loop: Header=BB0_90 Depth=1
	s_mov_b32 s0, 0
.LBB0_265:                              ;   in Loop: Header=BB0_90 Depth=1
	s_delay_alu instid0(SALU_CYCLE_1)
	s_and_not1_b32 vcc_lo, exec_lo, s0
	s_cbranch_vccnz .LBB0_576
; %bb.266:                              ;   in Loop: Header=BB0_90 Depth=1
	s_and_b32 s101, 0xffff, s100
	s_mov_b32 s0, -1
	s_cmp_gt_u32 s101, 43
	s_cbranch_scc0 .LBB0_421
; %bb.267:                              ;   in Loop: Header=BB0_90 Depth=1
	s_cmp_gt_u32 s101, 0x41
	s_cbranch_scc0 .LBB0_350
; %bb.268:                              ;   in Loop: Header=BB0_90 Depth=1
	;; [unrolled: 3-line block ×5, first 2 shown]
	s_sext_i32_i16 s0, s100
	s_delay_alu instid0(SALU_CYCLE_1)
	s_cmp_lt_i32 s0, 0x57
	s_mov_b32 s0, -1
	s_cbranch_scc1 .LBB0_277
; %bb.272:                              ;   in Loop: Header=BB0_90 Depth=1
	s_cmp_lg_u32 s101, 0x57
	s_cbranch_scc0 .LBB0_274
; %bb.273:                              ;   in Loop: Header=BB0_90 Depth=1
	v_mov_b32_e32 v31, v40
	s_get_pc_i64 s[0:1]
	s_add_nc_u64 s[0:1], s[0:1], _Z53ncclDevFunc_ReduceScatter_RING_LL_SumPostDiv_u8_0_0_1v@rel64+4
	s_mov_b64 s[4:5], s[48:49]
	s_mov_b64 s[6:7], s[38:39]
	s_mov_b64 s[8:9], s[50:51]
	s_mov_b64 s[10:11], s[34:35]
	s_swap_pc_i64 s[30:31], s[0:1]
	s_mov_b32 s0, 0
.LBB0_274:                              ;   in Loop: Header=BB0_90 Depth=1
	s_delay_alu instid0(SALU_CYCLE_1)
	s_and_not1_b32 vcc_lo, exec_lo, s0
	s_cbranch_vccnz .LBB0_276
; %bb.275:                              ;   in Loop: Header=BB0_90 Depth=1
	v_mov_b32_e32 v31, v40
	s_get_pc_i64 s[0:1]
	s_add_nc_u64 s[0:1], s[0:1], _Z56ncclDevFunc_ReduceScatter_RING_LL_PreMulSum_f8e5m2_0_0_1v@rel64+4
	s_mov_b64 s[4:5], s[48:49]
	s_mov_b64 s[6:7], s[38:39]
	;; [unrolled: 1-line block ×4, first 2 shown]
	s_swap_pc_i64 s[30:31], s[0:1]
.LBB0_276:                              ;   in Loop: Header=BB0_90 Depth=1
	s_mov_b32 s0, 0
.LBB0_277:                              ;   in Loop: Header=BB0_90 Depth=1
	s_delay_alu instid0(SALU_CYCLE_1)
	s_and_not1_b32 vcc_lo, exec_lo, s0
	s_cbranch_vccnz .LBB0_279
; %bb.278:                              ;   in Loop: Header=BB0_90 Depth=1
	v_mov_b32_e32 v31, v40
	s_get_pc_i64 s[0:1]
	s_add_nc_u64 s[0:1], s[0:1], _Z56ncclDevFunc_ReduceScatter_RING_LL_PreMulSum_f8e4m3_0_0_1v@rel64+4
	s_mov_b64 s[4:5], s[48:49]
	s_mov_b64 s[6:7], s[38:39]
	;; [unrolled: 1-line block ×4, first 2 shown]
	s_swap_pc_i64 s[30:31], s[0:1]
.LBB0_279:                              ;   in Loop: Header=BB0_90 Depth=1
	s_mov_b32 s0, 0
.LBB0_280:                              ;   in Loop: Header=BB0_90 Depth=1
	s_delay_alu instid0(SALU_CYCLE_1)
	s_and_b32 vcc_lo, exec_lo, s0
	s_cbranch_vccz .LBB0_289
; %bb.281:                              ;   in Loop: Header=BB0_90 Depth=1
	s_sext_i32_i16 s0, s100
	s_delay_alu instid0(SALU_CYCLE_1)
	s_cmp_lt_i32 s0, 0x54
	s_mov_b32 s0, -1
	s_cbranch_scc1 .LBB0_287
; %bb.282:                              ;   in Loop: Header=BB0_90 Depth=1
	s_cmp_lg_u32 s101, 0x54
	s_cbranch_scc0 .LBB0_284
; %bb.283:                              ;   in Loop: Header=BB0_90 Depth=1
	v_mov_b32_e32 v31, v40
	s_get_pc_i64 s[0:1]
	s_add_nc_u64 s[0:1], s[0:1], _Z54ncclDevFunc_ReduceScatter_RING_LL_PreMulSum_bf16_0_0_1v@rel64+4
	s_mov_b64 s[4:5], s[48:49]
	s_mov_b64 s[6:7], s[38:39]
	;; [unrolled: 1-line block ×4, first 2 shown]
	s_swap_pc_i64 s[30:31], s[0:1]
	s_mov_b32 s0, 0
.LBB0_284:                              ;   in Loop: Header=BB0_90 Depth=1
	s_delay_alu instid0(SALU_CYCLE_1)
	s_and_not1_b32 vcc_lo, exec_lo, s0
	s_cbranch_vccnz .LBB0_286
; %bb.285:                              ;   in Loop: Header=BB0_90 Depth=1
	v_mov_b32_e32 v31, v40
	s_get_pc_i64 s[0:1]
	s_add_nc_u64 s[0:1], s[0:1], _Z53ncclDevFunc_ReduceScatter_RING_LL_PreMulSum_f64_0_0_1v@rel64+4
	s_mov_b64 s[4:5], s[48:49]
	s_mov_b64 s[6:7], s[38:39]
	;; [unrolled: 1-line block ×4, first 2 shown]
	s_swap_pc_i64 s[30:31], s[0:1]
.LBB0_286:                              ;   in Loop: Header=BB0_90 Depth=1
	s_mov_b32 s0, 0
.LBB0_287:                              ;   in Loop: Header=BB0_90 Depth=1
	s_delay_alu instid0(SALU_CYCLE_1)
	s_and_not1_b32 vcc_lo, exec_lo, s0
	s_cbranch_vccnz .LBB0_289
; %bb.288:                              ;   in Loop: Header=BB0_90 Depth=1
	v_mov_b32_e32 v31, v40
	s_get_pc_i64 s[0:1]
	s_add_nc_u64 s[0:1], s[0:1], _Z53ncclDevFunc_ReduceScatter_RING_LL_PreMulSum_f32_0_0_1v@rel64+4
	s_mov_b64 s[4:5], s[48:49]
	s_mov_b64 s[6:7], s[38:39]
	;; [unrolled: 1-line block ×4, first 2 shown]
	s_swap_pc_i64 s[30:31], s[0:1]
.LBB0_289:                              ;   in Loop: Header=BB0_90 Depth=1
	s_mov_b32 s0, 0
.LBB0_290:                              ;   in Loop: Header=BB0_90 Depth=1
	s_delay_alu instid0(SALU_CYCLE_1)
	s_and_not1_b32 vcc_lo, exec_lo, s0
	s_cbranch_vccnz .LBB0_310
; %bb.291:                              ;   in Loop: Header=BB0_90 Depth=1
	s_cmp_gt_u32 s101, 0x4f
	s_mov_b32 s0, -1
	s_cbranch_scc0 .LBB0_301
; %bb.292:                              ;   in Loop: Header=BB0_90 Depth=1
	s_sext_i32_i16 s0, s100
	s_delay_alu instid0(SALU_CYCLE_1)
	s_cmp_lt_i32 s0, 0x51
	s_mov_b32 s0, -1
	s_cbranch_scc1 .LBB0_298
; %bb.293:                              ;   in Loop: Header=BB0_90 Depth=1
	s_cmp_lg_u32 s101, 0x51
	s_cbranch_scc0 .LBB0_295
; %bb.294:                              ;   in Loop: Header=BB0_90 Depth=1
	v_mov_b32_e32 v31, v40
	s_get_pc_i64 s[0:1]
	s_add_nc_u64 s[0:1], s[0:1], _Z53ncclDevFunc_ReduceScatter_RING_LL_PreMulSum_f16_0_0_1v@rel64+4
	s_mov_b64 s[4:5], s[48:49]
	s_mov_b64 s[6:7], s[38:39]
	s_mov_b64 s[8:9], s[50:51]
	s_mov_b64 s[10:11], s[34:35]
	s_swap_pc_i64 s[30:31], s[0:1]
	s_mov_b32 s0, 0
.LBB0_295:                              ;   in Loop: Header=BB0_90 Depth=1
	s_delay_alu instid0(SALU_CYCLE_1)
	s_and_not1_b32 vcc_lo, exec_lo, s0
	s_cbranch_vccnz .LBB0_297
; %bb.296:                              ;   in Loop: Header=BB0_90 Depth=1
	v_mov_b32_e32 v31, v40
	s_get_pc_i64 s[0:1]
	s_add_nc_u64 s[0:1], s[0:1], _Z53ncclDevFunc_ReduceScatter_RING_LL_PreMulSum_u64_0_0_1v@rel64+4
	s_mov_b64 s[4:5], s[48:49]
	s_mov_b64 s[6:7], s[38:39]
	s_mov_b64 s[8:9], s[50:51]
	s_mov_b64 s[10:11], s[34:35]
	s_swap_pc_i64 s[30:31], s[0:1]
.LBB0_297:                              ;   in Loop: Header=BB0_90 Depth=1
	s_mov_b32 s0, 0
.LBB0_298:                              ;   in Loop: Header=BB0_90 Depth=1
	s_delay_alu instid0(SALU_CYCLE_1)
	s_and_not1_b32 vcc_lo, exec_lo, s0
	s_cbranch_vccnz .LBB0_300
; %bb.299:                              ;   in Loop: Header=BB0_90 Depth=1
	v_mov_b32_e32 v31, v40
	s_get_pc_i64 s[0:1]
	s_add_nc_u64 s[0:1], s[0:1], _Z53ncclDevFunc_ReduceScatter_RING_LL_PreMulSum_u32_0_0_1v@rel64+4
	s_mov_b64 s[4:5], s[48:49]
	s_mov_b64 s[6:7], s[38:39]
	;; [unrolled: 1-line block ×4, first 2 shown]
	s_swap_pc_i64 s[30:31], s[0:1]
.LBB0_300:                              ;   in Loop: Header=BB0_90 Depth=1
	s_mov_b32 s0, 0
.LBB0_301:                              ;   in Loop: Header=BB0_90 Depth=1
	s_delay_alu instid0(SALU_CYCLE_1)
	s_and_b32 vcc_lo, exec_lo, s0
	s_cbranch_vccz .LBB0_310
; %bb.302:                              ;   in Loop: Header=BB0_90 Depth=1
	s_sext_i32_i16 s0, s100
	s_delay_alu instid0(SALU_CYCLE_1)
	s_cmp_lt_i32 s0, 0x4e
	s_mov_b32 s0, -1
	s_cbranch_scc1 .LBB0_308
; %bb.303:                              ;   in Loop: Header=BB0_90 Depth=1
	s_cmp_lg_u32 s101, 0x4e
	s_cbranch_scc0 .LBB0_305
; %bb.304:                              ;   in Loop: Header=BB0_90 Depth=1
	v_mov_b32_e32 v31, v40
	s_get_pc_i64 s[0:1]
	s_add_nc_u64 s[0:1], s[0:1], _Z52ncclDevFunc_ReduceScatter_RING_LL_PreMulSum_u8_0_0_1v@rel64+4
	s_mov_b64 s[4:5], s[48:49]
	s_mov_b64 s[6:7], s[38:39]
	;; [unrolled: 1-line block ×4, first 2 shown]
	s_swap_pc_i64 s[30:31], s[0:1]
	s_mov_b32 s0, 0
.LBB0_305:                              ;   in Loop: Header=BB0_90 Depth=1
	s_delay_alu instid0(SALU_CYCLE_1)
	s_and_not1_b32 vcc_lo, exec_lo, s0
	s_cbranch_vccnz .LBB0_307
; %bb.306:                              ;   in Loop: Header=BB0_90 Depth=1
	v_mov_b32_e32 v31, v40
	s_get_pc_i64 s[0:1]
	s_add_nc_u64 s[0:1], s[0:1], _Z53ncclDevFunc_ReduceScatter_RING_LL_MinMax_f8e5m2_0_0_1v@rel64+4
	s_mov_b64 s[4:5], s[48:49]
	s_mov_b64 s[6:7], s[38:39]
	;; [unrolled: 1-line block ×4, first 2 shown]
	s_swap_pc_i64 s[30:31], s[0:1]
.LBB0_307:                              ;   in Loop: Header=BB0_90 Depth=1
	s_mov_b32 s0, 0
.LBB0_308:                              ;   in Loop: Header=BB0_90 Depth=1
	s_delay_alu instid0(SALU_CYCLE_1)
	s_and_not1_b32 vcc_lo, exec_lo, s0
	s_cbranch_vccnz .LBB0_310
; %bb.309:                              ;   in Loop: Header=BB0_90 Depth=1
	v_mov_b32_e32 v31, v40
	s_get_pc_i64 s[0:1]
	s_add_nc_u64 s[0:1], s[0:1], _Z53ncclDevFunc_ReduceScatter_RING_LL_MinMax_f8e4m3_0_0_1v@rel64+4
	s_mov_b64 s[4:5], s[48:49]
	s_mov_b64 s[6:7], s[38:39]
	;; [unrolled: 1-line block ×4, first 2 shown]
	s_swap_pc_i64 s[30:31], s[0:1]
.LBB0_310:                              ;   in Loop: Header=BB0_90 Depth=1
	s_mov_b32 s0, 0
.LBB0_311:                              ;   in Loop: Header=BB0_90 Depth=1
	s_delay_alu instid0(SALU_CYCLE_1)
	s_and_not1_b32 vcc_lo, exec_lo, s0
	s_cbranch_vccnz .LBB0_349
; %bb.312:                              ;   in Loop: Header=BB0_90 Depth=1
	s_cmp_gt_u32 s101, 0x46
	s_mov_b32 s0, -1
	s_cbranch_scc0 .LBB0_333
; %bb.313:                              ;   in Loop: Header=BB0_90 Depth=1
	s_cmp_gt_u32 s101, 0x49
	s_cbranch_scc0 .LBB0_323
; %bb.314:                              ;   in Loop: Header=BB0_90 Depth=1
	s_sext_i32_i16 s0, s100
	s_delay_alu instid0(SALU_CYCLE_1)
	s_cmp_lt_i32 s0, 0x4b
	s_mov_b32 s0, -1
	s_cbranch_scc1 .LBB0_320
; %bb.315:                              ;   in Loop: Header=BB0_90 Depth=1
	s_cmp_lg_u32 s101, 0x4b
	s_cbranch_scc0 .LBB0_317
; %bb.316:                              ;   in Loop: Header=BB0_90 Depth=1
	v_mov_b32_e32 v31, v40
	s_get_pc_i64 s[0:1]
	s_add_nc_u64 s[0:1], s[0:1], _Z51ncclDevFunc_ReduceScatter_RING_LL_MinMax_bf16_0_0_1v@rel64+4
	s_mov_b64 s[4:5], s[48:49]
	s_mov_b64 s[6:7], s[38:39]
	;; [unrolled: 1-line block ×4, first 2 shown]
	s_swap_pc_i64 s[30:31], s[0:1]
	s_mov_b32 s0, 0
.LBB0_317:                              ;   in Loop: Header=BB0_90 Depth=1
	s_delay_alu instid0(SALU_CYCLE_1)
	s_and_not1_b32 vcc_lo, exec_lo, s0
	s_cbranch_vccnz .LBB0_319
; %bb.318:                              ;   in Loop: Header=BB0_90 Depth=1
	v_mov_b32_e32 v31, v40
	s_get_pc_i64 s[0:1]
	s_add_nc_u64 s[0:1], s[0:1], _Z50ncclDevFunc_ReduceScatter_RING_LL_MinMax_f64_0_0_1v@rel64+4
	s_mov_b64 s[4:5], s[48:49]
	s_mov_b64 s[6:7], s[38:39]
	;; [unrolled: 1-line block ×4, first 2 shown]
	s_swap_pc_i64 s[30:31], s[0:1]
.LBB0_319:                              ;   in Loop: Header=BB0_90 Depth=1
	s_mov_b32 s0, 0
.LBB0_320:                              ;   in Loop: Header=BB0_90 Depth=1
	s_delay_alu instid0(SALU_CYCLE_1)
	s_and_not1_b32 vcc_lo, exec_lo, s0
	s_cbranch_vccnz .LBB0_322
; %bb.321:                              ;   in Loop: Header=BB0_90 Depth=1
	v_mov_b32_e32 v31, v40
	s_get_pc_i64 s[0:1]
	s_add_nc_u64 s[0:1], s[0:1], _Z50ncclDevFunc_ReduceScatter_RING_LL_MinMax_f32_0_0_1v@rel64+4
	s_mov_b64 s[4:5], s[48:49]
	s_mov_b64 s[6:7], s[38:39]
	;; [unrolled: 1-line block ×4, first 2 shown]
	s_swap_pc_i64 s[30:31], s[0:1]
.LBB0_322:                              ;   in Loop: Header=BB0_90 Depth=1
	s_mov_b32 s0, 0
.LBB0_323:                              ;   in Loop: Header=BB0_90 Depth=1
	s_delay_alu instid0(SALU_CYCLE_1)
	s_and_b32 vcc_lo, exec_lo, s0
	s_cbranch_vccz .LBB0_332
; %bb.324:                              ;   in Loop: Header=BB0_90 Depth=1
	s_sext_i32_i16 s0, s100
	s_delay_alu instid0(SALU_CYCLE_1)
	s_cmp_lt_i32 s0, 0x48
	s_mov_b32 s0, -1
	s_cbranch_scc1 .LBB0_330
; %bb.325:                              ;   in Loop: Header=BB0_90 Depth=1
	s_cmp_lg_u32 s101, 0x48
	s_cbranch_scc0 .LBB0_327
; %bb.326:                              ;   in Loop: Header=BB0_90 Depth=1
	v_mov_b32_e32 v31, v40
	s_get_pc_i64 s[0:1]
	s_add_nc_u64 s[0:1], s[0:1], _Z50ncclDevFunc_ReduceScatter_RING_LL_MinMax_f16_0_0_1v@rel64+4
	s_mov_b64 s[4:5], s[48:49]
	s_mov_b64 s[6:7], s[38:39]
	s_mov_b64 s[8:9], s[50:51]
	s_mov_b64 s[10:11], s[34:35]
	s_swap_pc_i64 s[30:31], s[0:1]
	s_mov_b32 s0, 0
.LBB0_327:                              ;   in Loop: Header=BB0_90 Depth=1
	s_delay_alu instid0(SALU_CYCLE_1)
	s_and_not1_b32 vcc_lo, exec_lo, s0
	s_cbranch_vccnz .LBB0_329
; %bb.328:                              ;   in Loop: Header=BB0_90 Depth=1
	v_mov_b32_e32 v31, v40
	s_get_pc_i64 s[0:1]
	s_add_nc_u64 s[0:1], s[0:1], _Z50ncclDevFunc_ReduceScatter_RING_LL_MinMax_u64_0_0_1v@rel64+4
	s_mov_b64 s[4:5], s[48:49]
	s_mov_b64 s[6:7], s[38:39]
	;; [unrolled: 1-line block ×4, first 2 shown]
	s_swap_pc_i64 s[30:31], s[0:1]
.LBB0_329:                              ;   in Loop: Header=BB0_90 Depth=1
	s_mov_b32 s0, 0
.LBB0_330:                              ;   in Loop: Header=BB0_90 Depth=1
	s_delay_alu instid0(SALU_CYCLE_1)
	s_and_not1_b32 vcc_lo, exec_lo, s0
	s_cbranch_vccnz .LBB0_332
; %bb.331:                              ;   in Loop: Header=BB0_90 Depth=1
	v_mov_b32_e32 v31, v40
	s_get_pc_i64 s[0:1]
	s_add_nc_u64 s[0:1], s[0:1], _Z50ncclDevFunc_ReduceScatter_RING_LL_MinMax_u32_0_0_1v@rel64+4
	s_mov_b64 s[4:5], s[48:49]
	s_mov_b64 s[6:7], s[38:39]
	;; [unrolled: 1-line block ×4, first 2 shown]
	s_swap_pc_i64 s[30:31], s[0:1]
.LBB0_332:                              ;   in Loop: Header=BB0_90 Depth=1
	s_mov_b32 s0, 0
.LBB0_333:                              ;   in Loop: Header=BB0_90 Depth=1
	s_delay_alu instid0(SALU_CYCLE_1)
	s_and_not1_b32 vcc_lo, exec_lo, s0
	s_cbranch_vccnz .LBB0_349
; %bb.334:                              ;   in Loop: Header=BB0_90 Depth=1
	s_cmp_gt_u32 s101, 0x43
	s_mov_b32 s0, -1
	s_cbranch_scc0 .LBB0_344
; %bb.335:                              ;   in Loop: Header=BB0_90 Depth=1
	s_sext_i32_i16 s0, s100
	s_delay_alu instid0(SALU_CYCLE_1)
	s_cmp_lt_i32 s0, 0x45
	s_mov_b32 s0, -1
	s_cbranch_scc1 .LBB0_341
; %bb.336:                              ;   in Loop: Header=BB0_90 Depth=1
	s_cmp_lg_u32 s101, 0x45
	s_cbranch_scc0 .LBB0_338
; %bb.337:                              ;   in Loop: Header=BB0_90 Depth=1
	v_mov_b32_e32 v31, v40
	s_get_pc_i64 s[0:1]
	s_add_nc_u64 s[0:1], s[0:1], _Z49ncclDevFunc_ReduceScatter_RING_LL_MinMax_u8_0_0_1v@rel64+4
	s_mov_b64 s[4:5], s[48:49]
	s_mov_b64 s[6:7], s[38:39]
	;; [unrolled: 1-line block ×4, first 2 shown]
	s_swap_pc_i64 s[30:31], s[0:1]
	s_mov_b32 s0, 0
.LBB0_338:                              ;   in Loop: Header=BB0_90 Depth=1
	s_delay_alu instid0(SALU_CYCLE_1)
	s_and_not1_b32 vcc_lo, exec_lo, s0
	s_cbranch_vccnz .LBB0_340
; %bb.339:                              ;   in Loop: Header=BB0_90 Depth=1
	v_mov_b32_e32 v31, v40
	s_get_pc_i64 s[0:1]
	s_add_nc_u64 s[0:1], s[0:1], _Z51ncclDevFunc_ReduceScatter_RING_LL_Prod_f8e5m2_0_0_1v@rel64+4
	s_mov_b64 s[4:5], s[48:49]
	s_mov_b64 s[6:7], s[38:39]
	;; [unrolled: 1-line block ×4, first 2 shown]
	s_swap_pc_i64 s[30:31], s[0:1]
.LBB0_340:                              ;   in Loop: Header=BB0_90 Depth=1
	s_mov_b32 s0, 0
.LBB0_341:                              ;   in Loop: Header=BB0_90 Depth=1
	s_delay_alu instid0(SALU_CYCLE_1)
	s_and_not1_b32 vcc_lo, exec_lo, s0
	s_cbranch_vccnz .LBB0_343
; %bb.342:                              ;   in Loop: Header=BB0_90 Depth=1
	v_mov_b32_e32 v31, v40
	s_get_pc_i64 s[0:1]
	s_add_nc_u64 s[0:1], s[0:1], _Z51ncclDevFunc_ReduceScatter_RING_LL_Prod_f8e4m3_0_0_1v@rel64+4
	s_mov_b64 s[4:5], s[48:49]
	s_mov_b64 s[6:7], s[38:39]
	;; [unrolled: 1-line block ×4, first 2 shown]
	s_swap_pc_i64 s[30:31], s[0:1]
.LBB0_343:                              ;   in Loop: Header=BB0_90 Depth=1
	s_mov_b32 s0, 0
.LBB0_344:                              ;   in Loop: Header=BB0_90 Depth=1
	s_delay_alu instid0(SALU_CYCLE_1)
	s_and_b32 vcc_lo, exec_lo, s0
	s_cbranch_vccz .LBB0_349
; %bb.345:                              ;   in Loop: Header=BB0_90 Depth=1
	s_cmp_eq_u32 s101, 0x43
	s_mov_b32 s0, -1
	s_cbranch_scc1 .LBB0_347
; %bb.346:                              ;   in Loop: Header=BB0_90 Depth=1
	v_mov_b32_e32 v31, v40
	s_get_pc_i64 s[0:1]
	s_add_nc_u64 s[0:1], s[0:1], _Z48ncclDevFunc_ReduceScatter_RING_LL_Prod_f64_0_0_1v@rel64+4
	s_mov_b64 s[4:5], s[48:49]
	s_mov_b64 s[6:7], s[38:39]
	;; [unrolled: 1-line block ×4, first 2 shown]
	s_swap_pc_i64 s[30:31], s[0:1]
	s_mov_b32 s0, 0
.LBB0_347:                              ;   in Loop: Header=BB0_90 Depth=1
	s_delay_alu instid0(SALU_CYCLE_1)
	s_and_not1_b32 vcc_lo, exec_lo, s0
	s_cbranch_vccnz .LBB0_349
; %bb.348:                              ;   in Loop: Header=BB0_90 Depth=1
	v_mov_b32_e32 v31, v40
	s_get_pc_i64 s[0:1]
	s_add_nc_u64 s[0:1], s[0:1], _Z49ncclDevFunc_ReduceScatter_RING_LL_Prod_bf16_0_0_1v@rel64+4
	s_mov_b64 s[4:5], s[48:49]
	s_mov_b64 s[6:7], s[38:39]
	;; [unrolled: 1-line block ×4, first 2 shown]
	s_swap_pc_i64 s[30:31], s[0:1]
.LBB0_349:                              ;   in Loop: Header=BB0_90 Depth=1
	s_mov_b32 s0, 0
.LBB0_350:                              ;   in Loop: Header=BB0_90 Depth=1
	s_delay_alu instid0(SALU_CYCLE_1)
	s_and_not1_b32 vcc_lo, exec_lo, s0
	s_cbranch_vccnz .LBB0_420
; %bb.351:                              ;   in Loop: Header=BB0_90 Depth=1
	s_cmp_gt_u32 s101, 54
	s_mov_b32 s0, -1
	s_cbranch_scc0 .LBB0_390
; %bb.352:                              ;   in Loop: Header=BB0_90 Depth=1
	s_cmp_gt_u32 s101, 59
	s_cbranch_scc0 .LBB0_373
; %bb.353:                              ;   in Loop: Header=BB0_90 Depth=1
	s_cmp_gt_u32 s101, 62
	s_cbranch_scc0 .LBB0_363
; %bb.354:                              ;   in Loop: Header=BB0_90 Depth=1
	s_sext_i32_i16 s0, s100
	s_delay_alu instid0(SALU_CYCLE_1)
	s_cmp_lt_i32 s0, 64
	s_mov_b32 s0, -1
	s_cbranch_scc1 .LBB0_360
; %bb.355:                              ;   in Loop: Header=BB0_90 Depth=1
	s_cmp_lg_u32 s101, 64
	s_cbranch_scc0 .LBB0_357
; %bb.356:                              ;   in Loop: Header=BB0_90 Depth=1
	v_mov_b32_e32 v31, v40
	s_get_pc_i64 s[0:1]
	s_add_nc_u64 s[0:1], s[0:1], _Z48ncclDevFunc_ReduceScatter_RING_LL_Prod_f32_0_0_1v@rel64+4
	s_mov_b64 s[4:5], s[48:49]
	s_mov_b64 s[6:7], s[38:39]
	;; [unrolled: 1-line block ×4, first 2 shown]
	s_swap_pc_i64 s[30:31], s[0:1]
	s_mov_b32 s0, 0
.LBB0_357:                              ;   in Loop: Header=BB0_90 Depth=1
	s_delay_alu instid0(SALU_CYCLE_1)
	s_and_not1_b32 vcc_lo, exec_lo, s0
	s_cbranch_vccnz .LBB0_359
; %bb.358:                              ;   in Loop: Header=BB0_90 Depth=1
	v_mov_b32_e32 v31, v40
	s_get_pc_i64 s[0:1]
	s_add_nc_u64 s[0:1], s[0:1], _Z48ncclDevFunc_ReduceScatter_RING_LL_Prod_f16_0_0_1v@rel64+4
	s_mov_b64 s[4:5], s[48:49]
	s_mov_b64 s[6:7], s[38:39]
	;; [unrolled: 1-line block ×4, first 2 shown]
	s_swap_pc_i64 s[30:31], s[0:1]
.LBB0_359:                              ;   in Loop: Header=BB0_90 Depth=1
	s_mov_b32 s0, 0
.LBB0_360:                              ;   in Loop: Header=BB0_90 Depth=1
	s_delay_alu instid0(SALU_CYCLE_1)
	s_and_not1_b32 vcc_lo, exec_lo, s0
	s_cbranch_vccnz .LBB0_362
; %bb.361:                              ;   in Loop: Header=BB0_90 Depth=1
	v_mov_b32_e32 v31, v40
	s_get_pc_i64 s[0:1]
	s_add_nc_u64 s[0:1], s[0:1], _Z48ncclDevFunc_ReduceScatter_RING_LL_Prod_u64_0_0_1v@rel64+4
	s_mov_b64 s[4:5], s[48:49]
	s_mov_b64 s[6:7], s[38:39]
	;; [unrolled: 1-line block ×4, first 2 shown]
	s_swap_pc_i64 s[30:31], s[0:1]
.LBB0_362:                              ;   in Loop: Header=BB0_90 Depth=1
	s_mov_b32 s0, 0
.LBB0_363:                              ;   in Loop: Header=BB0_90 Depth=1
	s_delay_alu instid0(SALU_CYCLE_1)
	s_and_b32 vcc_lo, exec_lo, s0
	s_cbranch_vccz .LBB0_372
; %bb.364:                              ;   in Loop: Header=BB0_90 Depth=1
	s_sext_i32_i16 s0, s100
	s_delay_alu instid0(SALU_CYCLE_1)
	s_cmp_lt_i32 s0, 61
	s_mov_b32 s0, -1
	s_cbranch_scc1 .LBB0_370
; %bb.365:                              ;   in Loop: Header=BB0_90 Depth=1
	s_cmp_lg_u32 s101, 61
	s_cbranch_scc0 .LBB0_367
; %bb.366:                              ;   in Loop: Header=BB0_90 Depth=1
	v_mov_b32_e32 v31, v40
	s_get_pc_i64 s[0:1]
	s_add_nc_u64 s[0:1], s[0:1], _Z48ncclDevFunc_ReduceScatter_RING_LL_Prod_u32_0_0_1v@rel64+4
	s_mov_b64 s[4:5], s[48:49]
	s_mov_b64 s[6:7], s[38:39]
	s_mov_b64 s[8:9], s[50:51]
	s_mov_b64 s[10:11], s[34:35]
	s_swap_pc_i64 s[30:31], s[0:1]
	s_mov_b32 s0, 0
.LBB0_367:                              ;   in Loop: Header=BB0_90 Depth=1
	s_delay_alu instid0(SALU_CYCLE_1)
	s_and_not1_b32 vcc_lo, exec_lo, s0
	s_cbranch_vccnz .LBB0_369
; %bb.368:                              ;   in Loop: Header=BB0_90 Depth=1
	v_mov_b32_e32 v31, v40
	s_get_pc_i64 s[0:1]
	s_add_nc_u64 s[0:1], s[0:1], _Z47ncclDevFunc_ReduceScatter_RING_LL_Prod_u8_0_0_1v@rel64+4
	s_mov_b64 s[4:5], s[48:49]
	s_mov_b64 s[6:7], s[38:39]
	;; [unrolled: 1-line block ×4, first 2 shown]
	s_swap_pc_i64 s[30:31], s[0:1]
.LBB0_369:                              ;   in Loop: Header=BB0_90 Depth=1
	s_mov_b32 s0, 0
.LBB0_370:                              ;   in Loop: Header=BB0_90 Depth=1
	s_delay_alu instid0(SALU_CYCLE_1)
	s_and_not1_b32 vcc_lo, exec_lo, s0
	s_cbranch_vccnz .LBB0_372
; %bb.371:                              ;   in Loop: Header=BB0_90 Depth=1
	v_mov_b32_e32 v31, v40
	s_get_pc_i64 s[0:1]
	s_add_nc_u64 s[0:1], s[0:1], _Z50ncclDevFunc_ReduceScatter_RING_LL_Sum_f8e5m2_0_0_1v@rel64+4
	s_mov_b64 s[4:5], s[48:49]
	s_mov_b64 s[6:7], s[38:39]
	;; [unrolled: 1-line block ×4, first 2 shown]
	s_swap_pc_i64 s[30:31], s[0:1]
.LBB0_372:                              ;   in Loop: Header=BB0_90 Depth=1
	s_mov_b32 s0, 0
.LBB0_373:                              ;   in Loop: Header=BB0_90 Depth=1
	s_delay_alu instid0(SALU_CYCLE_1)
	s_and_not1_b32 vcc_lo, exec_lo, s0
	s_cbranch_vccnz .LBB0_389
; %bb.374:                              ;   in Loop: Header=BB0_90 Depth=1
	s_cmp_gt_u32 s101, 56
	s_mov_b32 s0, -1
	s_cbranch_scc0 .LBB0_384
; %bb.375:                              ;   in Loop: Header=BB0_90 Depth=1
	s_sext_i32_i16 s0, s100
	s_delay_alu instid0(SALU_CYCLE_1)
	s_cmp_lt_i32 s0, 58
	s_mov_b32 s0, -1
	s_cbranch_scc1 .LBB0_381
; %bb.376:                              ;   in Loop: Header=BB0_90 Depth=1
	s_cmp_lg_u32 s101, 58
	s_cbranch_scc0 .LBB0_378
; %bb.377:                              ;   in Loop: Header=BB0_90 Depth=1
	v_mov_b32_e32 v31, v40
	s_get_pc_i64 s[0:1]
	s_add_nc_u64 s[0:1], s[0:1], _Z50ncclDevFunc_ReduceScatter_RING_LL_Sum_f8e4m3_0_0_1v@rel64+4
	s_mov_b64 s[4:5], s[48:49]
	s_mov_b64 s[6:7], s[38:39]
	;; [unrolled: 1-line block ×4, first 2 shown]
	s_swap_pc_i64 s[30:31], s[0:1]
	s_mov_b32 s0, 0
.LBB0_378:                              ;   in Loop: Header=BB0_90 Depth=1
	s_delay_alu instid0(SALU_CYCLE_1)
	s_and_not1_b32 vcc_lo, exec_lo, s0
	s_cbranch_vccnz .LBB0_380
; %bb.379:                              ;   in Loop: Header=BB0_90 Depth=1
	v_mov_b32_e32 v31, v40
	s_get_pc_i64 s[0:1]
	s_add_nc_u64 s[0:1], s[0:1], _Z48ncclDevFunc_ReduceScatter_RING_LL_Sum_bf16_0_0_1v@rel64+4
	s_mov_b64 s[4:5], s[48:49]
	s_mov_b64 s[6:7], s[38:39]
	;; [unrolled: 1-line block ×4, first 2 shown]
	s_swap_pc_i64 s[30:31], s[0:1]
.LBB0_380:                              ;   in Loop: Header=BB0_90 Depth=1
	s_mov_b32 s0, 0
.LBB0_381:                              ;   in Loop: Header=BB0_90 Depth=1
	s_delay_alu instid0(SALU_CYCLE_1)
	s_and_not1_b32 vcc_lo, exec_lo, s0
	s_cbranch_vccnz .LBB0_383
; %bb.382:                              ;   in Loop: Header=BB0_90 Depth=1
	v_mov_b32_e32 v31, v40
	s_get_pc_i64 s[0:1]
	s_add_nc_u64 s[0:1], s[0:1], _Z47ncclDevFunc_ReduceScatter_RING_LL_Sum_f64_0_0_1v@rel64+4
	s_mov_b64 s[4:5], s[48:49]
	s_mov_b64 s[6:7], s[38:39]
	;; [unrolled: 1-line block ×4, first 2 shown]
	s_swap_pc_i64 s[30:31], s[0:1]
.LBB0_383:                              ;   in Loop: Header=BB0_90 Depth=1
	s_mov_b32 s0, 0
.LBB0_384:                              ;   in Loop: Header=BB0_90 Depth=1
	s_delay_alu instid0(SALU_CYCLE_1)
	s_and_b32 vcc_lo, exec_lo, s0
	s_cbranch_vccz .LBB0_389
; %bb.385:                              ;   in Loop: Header=BB0_90 Depth=1
	s_cmp_eq_u32 s101, 56
	s_mov_b32 s0, -1
	s_cbranch_scc1 .LBB0_387
; %bb.386:                              ;   in Loop: Header=BB0_90 Depth=1
	v_mov_b32_e32 v31, v40
	s_get_pc_i64 s[0:1]
	s_add_nc_u64 s[0:1], s[0:1], _Z47ncclDevFunc_ReduceScatter_RING_LL_Sum_f16_0_0_1v@rel64+4
	s_mov_b64 s[4:5], s[48:49]
	s_mov_b64 s[6:7], s[38:39]
	;; [unrolled: 1-line block ×4, first 2 shown]
	s_swap_pc_i64 s[30:31], s[0:1]
	s_mov_b32 s0, 0
.LBB0_387:                              ;   in Loop: Header=BB0_90 Depth=1
	s_delay_alu instid0(SALU_CYCLE_1)
	s_and_not1_b32 vcc_lo, exec_lo, s0
	s_cbranch_vccnz .LBB0_389
; %bb.388:                              ;   in Loop: Header=BB0_90 Depth=1
	v_mov_b32_e32 v31, v40
	s_get_pc_i64 s[0:1]
	s_add_nc_u64 s[0:1], s[0:1], _Z47ncclDevFunc_ReduceScatter_RING_LL_Sum_f32_0_0_1v@rel64+4
	s_mov_b64 s[4:5], s[48:49]
	s_mov_b64 s[6:7], s[38:39]
	;; [unrolled: 1-line block ×4, first 2 shown]
	s_swap_pc_i64 s[30:31], s[0:1]
.LBB0_389:                              ;   in Loop: Header=BB0_90 Depth=1
	s_mov_b32 s0, 0
.LBB0_390:                              ;   in Loop: Header=BB0_90 Depth=1
	s_delay_alu instid0(SALU_CYCLE_1)
	s_and_not1_b32 vcc_lo, exec_lo, s0
	s_cbranch_vccnz .LBB0_420
; %bb.391:                              ;   in Loop: Header=BB0_90 Depth=1
	s_cmp_gt_u32 s101, 48
	s_mov_b32 s0, -1
	s_cbranch_scc0 .LBB0_408
; %bb.392:                              ;   in Loop: Header=BB0_90 Depth=1
	s_cmp_gt_u32 s101, 51
	s_cbranch_scc0 .LBB0_402
; %bb.393:                              ;   in Loop: Header=BB0_90 Depth=1
	s_sext_i32_i16 s0, s100
	s_delay_alu instid0(SALU_CYCLE_1)
	s_cmp_lt_i32 s0, 53
	s_mov_b32 s0, -1
	s_cbranch_scc1 .LBB0_399
; %bb.394:                              ;   in Loop: Header=BB0_90 Depth=1
	s_cmp_lg_u32 s101, 53
	s_cbranch_scc0 .LBB0_396
; %bb.395:                              ;   in Loop: Header=BB0_90 Depth=1
	v_mov_b32_e32 v31, v40
	s_get_pc_i64 s[0:1]
	s_add_nc_u64 s[0:1], s[0:1], _Z47ncclDevFunc_ReduceScatter_RING_LL_Sum_u64_0_0_1v@rel64+4
	s_mov_b64 s[4:5], s[48:49]
	s_mov_b64 s[6:7], s[38:39]
	;; [unrolled: 1-line block ×4, first 2 shown]
	s_swap_pc_i64 s[30:31], s[0:1]
	s_mov_b32 s0, 0
.LBB0_396:                              ;   in Loop: Header=BB0_90 Depth=1
	s_delay_alu instid0(SALU_CYCLE_1)
	s_and_not1_b32 vcc_lo, exec_lo, s0
	s_cbranch_vccnz .LBB0_398
; %bb.397:                              ;   in Loop: Header=BB0_90 Depth=1
	v_mov_b32_e32 v31, v40
	s_get_pc_i64 s[0:1]
	s_add_nc_u64 s[0:1], s[0:1], _Z47ncclDevFunc_ReduceScatter_RING_LL_Sum_u32_0_0_1v@rel64+4
	s_mov_b64 s[4:5], s[48:49]
	s_mov_b64 s[6:7], s[38:39]
	;; [unrolled: 1-line block ×4, first 2 shown]
	s_swap_pc_i64 s[30:31], s[0:1]
.LBB0_398:                              ;   in Loop: Header=BB0_90 Depth=1
	s_mov_b32 s0, 0
.LBB0_399:                              ;   in Loop: Header=BB0_90 Depth=1
	s_delay_alu instid0(SALU_CYCLE_1)
	s_and_not1_b32 vcc_lo, exec_lo, s0
	s_cbranch_vccnz .LBB0_401
; %bb.400:                              ;   in Loop: Header=BB0_90 Depth=1
	v_mov_b32_e32 v31, v40
	s_get_pc_i64 s[0:1]
	s_add_nc_u64 s[0:1], s[0:1], _Z46ncclDevFunc_ReduceScatter_RING_LL_Sum_u8_0_0_1v@rel64+4
	s_mov_b64 s[4:5], s[48:49]
	s_mov_b64 s[6:7], s[38:39]
	;; [unrolled: 1-line block ×4, first 2 shown]
	s_swap_pc_i64 s[30:31], s[0:1]
.LBB0_401:                              ;   in Loop: Header=BB0_90 Depth=1
	s_mov_b32 s0, 0
.LBB0_402:                              ;   in Loop: Header=BB0_90 Depth=1
	s_delay_alu instid0(SALU_CYCLE_1)
	s_and_b32 vcc_lo, exec_lo, s0
	s_cbranch_vccz .LBB0_407
; %bb.403:                              ;   in Loop: Header=BB0_90 Depth=1
	s_cmp_lg_u32 s101, 49
	s_mov_b32 s0, -1
	s_cbranch_scc0 .LBB0_405
; %bb.404:                              ;   in Loop: Header=BB0_90 Depth=1
	v_mov_b32_e32 v31, v40
	s_get_pc_i64 s[0:1]
	s_add_nc_u64 s[0:1], s[0:1], _Z45ncclDevFunc_AllGather_PAT_SIMPLE_Sum_i8_0_0_1v@rel64+4
	s_mov_b64 s[4:5], s[48:49]
	s_mov_b64 s[6:7], s[38:39]
	;; [unrolled: 1-line block ×4, first 2 shown]
	s_swap_pc_i64 s[30:31], s[0:1]
	s_mov_b32 s0, 0
.LBB0_405:                              ;   in Loop: Header=BB0_90 Depth=1
	s_delay_alu instid0(SALU_CYCLE_1)
	s_and_not1_b32 vcc_lo, exec_lo, s0
	s_cbranch_vccnz .LBB0_407
; %bb.406:                              ;   in Loop: Header=BB0_90 Depth=1
	v_mov_b32_e32 v31, v40
	s_get_pc_i64 s[0:1]
	s_add_nc_u64 s[0:1], s[0:1], _Z41ncclDevFunc_AllGather_PAT_LL_Sum_i8_0_0_1v@rel64+4
	s_mov_b64 s[4:5], s[48:49]
	s_mov_b64 s[6:7], s[38:39]
	;; [unrolled: 1-line block ×4, first 2 shown]
	s_swap_pc_i64 s[30:31], s[0:1]
.LBB0_407:                              ;   in Loop: Header=BB0_90 Depth=1
	s_mov_b32 s0, 0
.LBB0_408:                              ;   in Loop: Header=BB0_90 Depth=1
	s_delay_alu instid0(SALU_CYCLE_1)
	s_and_not1_b32 vcc_lo, exec_lo, s0
	s_cbranch_vccnz .LBB0_420
; %bb.409:                              ;   in Loop: Header=BB0_90 Depth=1
	s_cmp_gt_u32 s101, 45
	s_mov_b32 s0, -1
	s_cbranch_scc0 .LBB0_415
; %bb.410:                              ;   in Loop: Header=BB0_90 Depth=1
	s_cmp_lg_u32 s101, 46
	s_cbranch_scc0 .LBB0_412
; %bb.411:                              ;   in Loop: Header=BB0_90 Depth=1
	v_mov_b32_e32 v31, v40
	s_get_pc_i64 s[0:1]
	s_add_nc_u64 s[0:1], s[0:1], _Z46ncclDevFunc_AllGather_RING_SIMPLE_Sum_i8_0_0_1v@rel64+4
	s_mov_b64 s[4:5], s[48:49]
	s_mov_b64 s[6:7], s[38:39]
	;; [unrolled: 1-line block ×4, first 2 shown]
	s_swap_pc_i64 s[30:31], s[0:1]
	s_mov_b32 s0, 0
.LBB0_412:                              ;   in Loop: Header=BB0_90 Depth=1
	s_delay_alu instid0(SALU_CYCLE_1)
	s_and_not1_b32 vcc_lo, exec_lo, s0
	s_cbranch_vccnz .LBB0_414
; %bb.413:                              ;   in Loop: Header=BB0_90 Depth=1
	v_mov_b32_e32 v31, v40
	s_get_pc_i64 s[0:1]
	s_add_nc_u64 s[0:1], s[0:1], _Z42ncclDevFunc_AllGather_RING_LL_Sum_i8_0_0_1v@rel64+4
	s_mov_b64 s[4:5], s[48:49]
	s_mov_b64 s[6:7], s[38:39]
	;; [unrolled: 1-line block ×4, first 2 shown]
	s_swap_pc_i64 s[30:31], s[0:1]
.LBB0_414:                              ;   in Loop: Header=BB0_90 Depth=1
	s_mov_b32 s0, 0
.LBB0_415:                              ;   in Loop: Header=BB0_90 Depth=1
	s_delay_alu instid0(SALU_CYCLE_1)
	s_and_not1_b32 vcc_lo, exec_lo, s0
	s_cbranch_vccnz .LBB0_420
; %bb.416:                              ;   in Loop: Header=BB0_90 Depth=1
	s_cmp_eq_u32 s101, 45
	s_mov_b32 s0, -1
	s_cbranch_scc1 .LBB0_418
; %bb.417:                              ;   in Loop: Header=BB0_90 Depth=1
	v_mov_b32_e32 v31, v40
	s_get_pc_i64 s[0:1]
	s_add_nc_u64 s[0:1], s[0:1], _Z51ncclDevFunc_Reduce_RING_SIMPLE_SumPostDiv_u32_0_0_1v@rel64+4
	s_mov_b64 s[4:5], s[48:49]
	s_mov_b64 s[6:7], s[38:39]
	;; [unrolled: 1-line block ×4, first 2 shown]
	s_swap_pc_i64 s[30:31], s[0:1]
	s_mov_b32 s0, 0
.LBB0_418:                              ;   in Loop: Header=BB0_90 Depth=1
	s_delay_alu instid0(SALU_CYCLE_1)
	s_and_not1_b32 vcc_lo, exec_lo, s0
	s_cbranch_vccnz .LBB0_420
; %bb.419:                              ;   in Loop: Header=BB0_90 Depth=1
	v_mov_b32_e32 v31, v40
	s_get_pc_i64 s[0:1]
	s_add_nc_u64 s[0:1], s[0:1], _Z51ncclDevFunc_Reduce_RING_SIMPLE_SumPostDiv_u64_0_0_1v@rel64+4
	s_mov_b64 s[4:5], s[48:49]
	s_mov_b64 s[6:7], s[38:39]
	;; [unrolled: 1-line block ×4, first 2 shown]
	s_swap_pc_i64 s[30:31], s[0:1]
.LBB0_420:                              ;   in Loop: Header=BB0_90 Depth=1
	s_mov_b32 s0, 0
.LBB0_421:                              ;   in Loop: Header=BB0_90 Depth=1
	s_delay_alu instid0(SALU_CYCLE_1)
	s_and_not1_b32 vcc_lo, exec_lo, s0
	s_cbranch_vccnz .LBB0_576
; %bb.422:                              ;   in Loop: Header=BB0_90 Depth=1
	s_cmp_gt_u32 s101, 21
	s_mov_b32 s0, -1
	s_cbranch_scc0 .LBB0_501
; %bb.423:                              ;   in Loop: Header=BB0_90 Depth=1
	s_cmp_gt_u32 s101, 32
	s_cbranch_scc0 .LBB0_462
; %bb.424:                              ;   in Loop: Header=BB0_90 Depth=1
	s_cmp_gt_u32 s101, 37
	;; [unrolled: 3-line block ×3, first 2 shown]
	s_cbranch_scc0 .LBB0_435
; %bb.426:                              ;   in Loop: Header=BB0_90 Depth=1
	s_sext_i32_i16 s0, s100
	s_delay_alu instid0(SALU_CYCLE_1)
	s_cmp_lt_i32 s0, 42
	s_mov_b32 s0, -1
	s_cbranch_scc1 .LBB0_432
; %bb.427:                              ;   in Loop: Header=BB0_90 Depth=1
	s_cmp_lg_u32 s101, 42
	s_cbranch_scc0 .LBB0_429
; %bb.428:                              ;   in Loop: Header=BB0_90 Depth=1
	v_mov_b32_e32 v31, v40
	s_get_pc_i64 s[0:1]
	s_add_nc_u64 s[0:1], s[0:1], _Z50ncclDevFunc_Reduce_RING_SIMPLE_SumPostDiv_u8_0_0_1v@rel64+4
	s_mov_b64 s[4:5], s[48:49]
	s_mov_b64 s[6:7], s[38:39]
	;; [unrolled: 1-line block ×4, first 2 shown]
	s_swap_pc_i64 s[30:31], s[0:1]
	s_mov_b32 s0, 0
.LBB0_429:                              ;   in Loop: Header=BB0_90 Depth=1
	s_delay_alu instid0(SALU_CYCLE_1)
	s_and_not1_b32 vcc_lo, exec_lo, s0
	s_cbranch_vccnz .LBB0_431
; %bb.430:                              ;   in Loop: Header=BB0_90 Depth=1
	v_mov_b32_e32 v31, v40
	s_get_pc_i64 s[0:1]
	s_add_nc_u64 s[0:1], s[0:1], _Z53ncclDevFunc_Reduce_RING_SIMPLE_PreMulSum_f8e5m2_0_0_1v@rel64+4
	s_mov_b64 s[4:5], s[48:49]
	s_mov_b64 s[6:7], s[38:39]
	;; [unrolled: 1-line block ×4, first 2 shown]
	s_swap_pc_i64 s[30:31], s[0:1]
.LBB0_431:                              ;   in Loop: Header=BB0_90 Depth=1
	s_mov_b32 s0, 0
.LBB0_432:                              ;   in Loop: Header=BB0_90 Depth=1
	s_delay_alu instid0(SALU_CYCLE_1)
	s_and_not1_b32 vcc_lo, exec_lo, s0
	s_cbranch_vccnz .LBB0_434
; %bb.433:                              ;   in Loop: Header=BB0_90 Depth=1
	v_mov_b32_e32 v31, v40
	s_get_pc_i64 s[0:1]
	s_add_nc_u64 s[0:1], s[0:1], _Z53ncclDevFunc_Reduce_RING_SIMPLE_PreMulSum_f8e4m3_0_0_1v@rel64+4
	s_mov_b64 s[4:5], s[48:49]
	s_mov_b64 s[6:7], s[38:39]
	;; [unrolled: 1-line block ×4, first 2 shown]
	s_swap_pc_i64 s[30:31], s[0:1]
.LBB0_434:                              ;   in Loop: Header=BB0_90 Depth=1
	s_mov_b32 s0, 0
.LBB0_435:                              ;   in Loop: Header=BB0_90 Depth=1
	s_delay_alu instid0(SALU_CYCLE_1)
	s_and_b32 vcc_lo, exec_lo, s0
	s_cbranch_vccz .LBB0_444
; %bb.436:                              ;   in Loop: Header=BB0_90 Depth=1
	s_sext_i32_i16 s0, s100
	s_delay_alu instid0(SALU_CYCLE_1)
	s_cmp_lt_i32 s0, 39
	s_mov_b32 s0, -1
	s_cbranch_scc1 .LBB0_442
; %bb.437:                              ;   in Loop: Header=BB0_90 Depth=1
	s_cmp_lg_u32 s101, 39
	s_cbranch_scc0 .LBB0_439
; %bb.438:                              ;   in Loop: Header=BB0_90 Depth=1
	v_mov_b32_e32 v31, v40
	s_get_pc_i64 s[0:1]
	s_add_nc_u64 s[0:1], s[0:1], _Z51ncclDevFunc_Reduce_RING_SIMPLE_PreMulSum_bf16_0_1_1v@rel64+4
	s_mov_b64 s[4:5], s[48:49]
	s_mov_b64 s[6:7], s[38:39]
	;; [unrolled: 1-line block ×4, first 2 shown]
	s_swap_pc_i64 s[30:31], s[0:1]
	s_mov_b32 s0, 0
.LBB0_439:                              ;   in Loop: Header=BB0_90 Depth=1
	s_delay_alu instid0(SALU_CYCLE_1)
	s_and_not1_b32 vcc_lo, exec_lo, s0
	s_cbranch_vccnz .LBB0_441
; %bb.440:                              ;   in Loop: Header=BB0_90 Depth=1
	v_mov_b32_e32 v31, v40
	s_get_pc_i64 s[0:1]
	s_add_nc_u64 s[0:1], s[0:1], _Z51ncclDevFunc_Reduce_RING_SIMPLE_PreMulSum_bf16_0_0_1v@rel64+4
	s_mov_b64 s[4:5], s[48:49]
	s_mov_b64 s[6:7], s[38:39]
	;; [unrolled: 1-line block ×4, first 2 shown]
	s_swap_pc_i64 s[30:31], s[0:1]
.LBB0_441:                              ;   in Loop: Header=BB0_90 Depth=1
	s_mov_b32 s0, 0
.LBB0_442:                              ;   in Loop: Header=BB0_90 Depth=1
	s_delay_alu instid0(SALU_CYCLE_1)
	s_and_not1_b32 vcc_lo, exec_lo, s0
	s_cbranch_vccnz .LBB0_444
; %bb.443:                              ;   in Loop: Header=BB0_90 Depth=1
	v_mov_b32_e32 v31, v40
	s_get_pc_i64 s[0:1]
	s_add_nc_u64 s[0:1], s[0:1], _Z50ncclDevFunc_Reduce_RING_SIMPLE_PreMulSum_f64_0_0_1v@rel64+4
	s_mov_b64 s[4:5], s[48:49]
	s_mov_b64 s[6:7], s[38:39]
	;; [unrolled: 1-line block ×4, first 2 shown]
	s_swap_pc_i64 s[30:31], s[0:1]
.LBB0_444:                              ;   in Loop: Header=BB0_90 Depth=1
	s_mov_b32 s0, 0
.LBB0_445:                              ;   in Loop: Header=BB0_90 Depth=1
	s_delay_alu instid0(SALU_CYCLE_1)
	s_and_not1_b32 vcc_lo, exec_lo, s0
	s_cbranch_vccnz .LBB0_461
; %bb.446:                              ;   in Loop: Header=BB0_90 Depth=1
	s_cmp_gt_u32 s101, 34
	s_mov_b32 s0, -1
	s_cbranch_scc0 .LBB0_456
; %bb.447:                              ;   in Loop: Header=BB0_90 Depth=1
	s_sext_i32_i16 s0, s100
	s_delay_alu instid0(SALU_CYCLE_1)
	s_cmp_lt_i32 s0, 36
	s_mov_b32 s0, -1
	s_cbranch_scc1 .LBB0_453
; %bb.448:                              ;   in Loop: Header=BB0_90 Depth=1
	s_cmp_lg_u32 s101, 36
	s_cbranch_scc0 .LBB0_450
; %bb.449:                              ;   in Loop: Header=BB0_90 Depth=1
	v_mov_b32_e32 v31, v40
	s_get_pc_i64 s[0:1]
	s_add_nc_u64 s[0:1], s[0:1], _Z50ncclDevFunc_Reduce_RING_SIMPLE_PreMulSum_f32_0_0_1v@rel64+4
	s_mov_b64 s[4:5], s[48:49]
	s_mov_b64 s[6:7], s[38:39]
	;; [unrolled: 1-line block ×4, first 2 shown]
	s_swap_pc_i64 s[30:31], s[0:1]
	s_mov_b32 s0, 0
.LBB0_450:                              ;   in Loop: Header=BB0_90 Depth=1
	s_delay_alu instid0(SALU_CYCLE_1)
	s_and_not1_b32 vcc_lo, exec_lo, s0
	s_cbranch_vccnz .LBB0_452
; %bb.451:                              ;   in Loop: Header=BB0_90 Depth=1
	v_mov_b32_e32 v31, v40
	s_get_pc_i64 s[0:1]
	s_add_nc_u64 s[0:1], s[0:1], _Z50ncclDevFunc_Reduce_RING_SIMPLE_PreMulSum_f16_0_0_1v@rel64+4
	s_mov_b64 s[4:5], s[48:49]
	s_mov_b64 s[6:7], s[38:39]
	;; [unrolled: 1-line block ×4, first 2 shown]
	s_swap_pc_i64 s[30:31], s[0:1]
.LBB0_452:                              ;   in Loop: Header=BB0_90 Depth=1
	s_mov_b32 s0, 0
.LBB0_453:                              ;   in Loop: Header=BB0_90 Depth=1
	s_delay_alu instid0(SALU_CYCLE_1)
	s_and_not1_b32 vcc_lo, exec_lo, s0
	s_cbranch_vccnz .LBB0_455
; %bb.454:                              ;   in Loop: Header=BB0_90 Depth=1
	v_mov_b32_e32 v31, v40
	s_get_pc_i64 s[0:1]
	s_add_nc_u64 s[0:1], s[0:1], _Z50ncclDevFunc_Reduce_RING_SIMPLE_PreMulSum_u64_0_0_1v@rel64+4
	s_mov_b64 s[4:5], s[48:49]
	s_mov_b64 s[6:7], s[38:39]
	;; [unrolled: 1-line block ×4, first 2 shown]
	s_swap_pc_i64 s[30:31], s[0:1]
.LBB0_455:                              ;   in Loop: Header=BB0_90 Depth=1
	s_mov_b32 s0, 0
.LBB0_456:                              ;   in Loop: Header=BB0_90 Depth=1
	s_delay_alu instid0(SALU_CYCLE_1)
	s_and_b32 vcc_lo, exec_lo, s0
	s_cbranch_vccz .LBB0_461
; %bb.457:                              ;   in Loop: Header=BB0_90 Depth=1
	s_cmp_eq_u32 s101, 34
	s_mov_b32 s0, -1
	s_cbranch_scc1 .LBB0_459
; %bb.458:                              ;   in Loop: Header=BB0_90 Depth=1
	v_mov_b32_e32 v31, v40
	s_get_pc_i64 s[0:1]
	s_add_nc_u64 s[0:1], s[0:1], _Z49ncclDevFunc_Reduce_RING_SIMPLE_PreMulSum_u8_0_0_1v@rel64+4
	s_mov_b64 s[4:5], s[48:49]
	s_mov_b64 s[6:7], s[38:39]
	;; [unrolled: 1-line block ×4, first 2 shown]
	s_swap_pc_i64 s[30:31], s[0:1]
	s_mov_b32 s0, 0
.LBB0_459:                              ;   in Loop: Header=BB0_90 Depth=1
	s_delay_alu instid0(SALU_CYCLE_1)
	s_and_not1_b32 vcc_lo, exec_lo, s0
	s_cbranch_vccnz .LBB0_461
; %bb.460:                              ;   in Loop: Header=BB0_90 Depth=1
	v_mov_b32_e32 v31, v40
	s_get_pc_i64 s[0:1]
	s_add_nc_u64 s[0:1], s[0:1], _Z50ncclDevFunc_Reduce_RING_SIMPLE_PreMulSum_u32_0_0_1v@rel64+4
	s_mov_b64 s[4:5], s[48:49]
	s_mov_b64 s[6:7], s[38:39]
	;; [unrolled: 1-line block ×4, first 2 shown]
	s_swap_pc_i64 s[30:31], s[0:1]
.LBB0_461:                              ;   in Loop: Header=BB0_90 Depth=1
	s_mov_b32 s0, 0
.LBB0_462:                              ;   in Loop: Header=BB0_90 Depth=1
	s_delay_alu instid0(SALU_CYCLE_1)
	s_and_not1_b32 vcc_lo, exec_lo, s0
	s_cbranch_vccnz .LBB0_500
; %bb.463:                              ;   in Loop: Header=BB0_90 Depth=1
	s_cmp_gt_u32 s101, 26
	s_mov_b32 s0, -1
	s_cbranch_scc0 .LBB0_484
; %bb.464:                              ;   in Loop: Header=BB0_90 Depth=1
	s_cmp_gt_u32 s101, 29
	s_cbranch_scc0 .LBB0_474
; %bb.465:                              ;   in Loop: Header=BB0_90 Depth=1
	s_sext_i32_i16 s0, s100
	s_delay_alu instid0(SALU_CYCLE_1)
	s_cmp_lt_i32 s0, 31
	s_mov_b32 s0, -1
	s_cbranch_scc1 .LBB0_471
; %bb.466:                              ;   in Loop: Header=BB0_90 Depth=1
	s_cmp_lg_u32 s101, 31
	s_cbranch_scc0 .LBB0_468
; %bb.467:                              ;   in Loop: Header=BB0_90 Depth=1
	v_mov_b32_e32 v31, v40
	s_get_pc_i64 s[0:1]
	s_add_nc_u64 s[0:1], s[0:1], _Z50ncclDevFunc_Reduce_RING_SIMPLE_MinMax_f8e5m2_0_0_1v@rel64+4
	s_mov_b64 s[4:5], s[48:49]
	s_mov_b64 s[6:7], s[38:39]
	;; [unrolled: 1-line block ×4, first 2 shown]
	s_swap_pc_i64 s[30:31], s[0:1]
	s_mov_b32 s0, 0
.LBB0_468:                              ;   in Loop: Header=BB0_90 Depth=1
	s_delay_alu instid0(SALU_CYCLE_1)
	s_and_not1_b32 vcc_lo, exec_lo, s0
	s_cbranch_vccnz .LBB0_470
; %bb.469:                              ;   in Loop: Header=BB0_90 Depth=1
	v_mov_b32_e32 v31, v40
	s_get_pc_i64 s[0:1]
	s_add_nc_u64 s[0:1], s[0:1], _Z50ncclDevFunc_Reduce_RING_SIMPLE_MinMax_f8e4m3_0_0_1v@rel64+4
	s_mov_b64 s[4:5], s[48:49]
	s_mov_b64 s[6:7], s[38:39]
	;; [unrolled: 1-line block ×4, first 2 shown]
	s_swap_pc_i64 s[30:31], s[0:1]
.LBB0_470:                              ;   in Loop: Header=BB0_90 Depth=1
	s_mov_b32 s0, 0
.LBB0_471:                              ;   in Loop: Header=BB0_90 Depth=1
	s_delay_alu instid0(SALU_CYCLE_1)
	s_and_not1_b32 vcc_lo, exec_lo, s0
	s_cbranch_vccnz .LBB0_473
; %bb.472:                              ;   in Loop: Header=BB0_90 Depth=1
	v_mov_b32_e32 v31, v40
	s_get_pc_i64 s[0:1]
	s_add_nc_u64 s[0:1], s[0:1], _Z48ncclDevFunc_Reduce_RING_SIMPLE_MinMax_bf16_0_1_1v@rel64+4
	s_mov_b64 s[4:5], s[48:49]
	s_mov_b64 s[6:7], s[38:39]
	;; [unrolled: 1-line block ×4, first 2 shown]
	s_swap_pc_i64 s[30:31], s[0:1]
.LBB0_473:                              ;   in Loop: Header=BB0_90 Depth=1
	s_mov_b32 s0, 0
.LBB0_474:                              ;   in Loop: Header=BB0_90 Depth=1
	s_delay_alu instid0(SALU_CYCLE_1)
	s_and_b32 vcc_lo, exec_lo, s0
	s_cbranch_vccz .LBB0_483
; %bb.475:                              ;   in Loop: Header=BB0_90 Depth=1
	s_sext_i32_i16 s0, s100
	s_delay_alu instid0(SALU_CYCLE_1)
	s_cmp_lt_i32 s0, 28
	s_mov_b32 s0, -1
	s_cbranch_scc1 .LBB0_481
; %bb.476:                              ;   in Loop: Header=BB0_90 Depth=1
	s_cmp_lg_u32 s101, 28
	s_cbranch_scc0 .LBB0_478
; %bb.477:                              ;   in Loop: Header=BB0_90 Depth=1
	v_mov_b32_e32 v31, v40
	s_get_pc_i64 s[0:1]
	s_add_nc_u64 s[0:1], s[0:1], _Z48ncclDevFunc_Reduce_RING_SIMPLE_MinMax_bf16_0_0_1v@rel64+4
	s_mov_b64 s[4:5], s[48:49]
	s_mov_b64 s[6:7], s[38:39]
	;; [unrolled: 1-line block ×4, first 2 shown]
	s_swap_pc_i64 s[30:31], s[0:1]
	s_mov_b32 s0, 0
.LBB0_478:                              ;   in Loop: Header=BB0_90 Depth=1
	s_delay_alu instid0(SALU_CYCLE_1)
	s_and_not1_b32 vcc_lo, exec_lo, s0
	s_cbranch_vccnz .LBB0_480
; %bb.479:                              ;   in Loop: Header=BB0_90 Depth=1
	v_mov_b32_e32 v31, v40
	s_get_pc_i64 s[0:1]
	s_add_nc_u64 s[0:1], s[0:1], _Z47ncclDevFunc_Reduce_RING_SIMPLE_MinMax_f64_0_0_1v@rel64+4
	s_mov_b64 s[4:5], s[48:49]
	s_mov_b64 s[6:7], s[38:39]
	;; [unrolled: 1-line block ×4, first 2 shown]
	s_swap_pc_i64 s[30:31], s[0:1]
.LBB0_480:                              ;   in Loop: Header=BB0_90 Depth=1
	s_mov_b32 s0, 0
.LBB0_481:                              ;   in Loop: Header=BB0_90 Depth=1
	s_delay_alu instid0(SALU_CYCLE_1)
	s_and_not1_b32 vcc_lo, exec_lo, s0
	s_cbranch_vccnz .LBB0_483
; %bb.482:                              ;   in Loop: Header=BB0_90 Depth=1
	v_mov_b32_e32 v31, v40
	s_get_pc_i64 s[0:1]
	s_add_nc_u64 s[0:1], s[0:1], _Z47ncclDevFunc_Reduce_RING_SIMPLE_MinMax_f32_0_0_1v@rel64+4
	s_mov_b64 s[4:5], s[48:49]
	s_mov_b64 s[6:7], s[38:39]
	;; [unrolled: 1-line block ×4, first 2 shown]
	s_swap_pc_i64 s[30:31], s[0:1]
.LBB0_483:                              ;   in Loop: Header=BB0_90 Depth=1
	s_mov_b32 s0, 0
.LBB0_484:                              ;   in Loop: Header=BB0_90 Depth=1
	s_delay_alu instid0(SALU_CYCLE_1)
	s_and_not1_b32 vcc_lo, exec_lo, s0
	s_cbranch_vccnz .LBB0_500
; %bb.485:                              ;   in Loop: Header=BB0_90 Depth=1
	s_cmp_gt_u32 s101, 23
	s_mov_b32 s0, -1
	s_cbranch_scc0 .LBB0_495
; %bb.486:                              ;   in Loop: Header=BB0_90 Depth=1
	s_sext_i32_i16 s0, s100
	s_delay_alu instid0(SALU_CYCLE_1)
	s_cmp_lt_i32 s0, 25
	s_mov_b32 s0, -1
	s_cbranch_scc1 .LBB0_492
; %bb.487:                              ;   in Loop: Header=BB0_90 Depth=1
	s_cmp_lg_u32 s101, 25
	s_cbranch_scc0 .LBB0_489
; %bb.488:                              ;   in Loop: Header=BB0_90 Depth=1
	v_mov_b32_e32 v31, v40
	s_get_pc_i64 s[0:1]
	s_add_nc_u64 s[0:1], s[0:1], _Z47ncclDevFunc_Reduce_RING_SIMPLE_MinMax_f16_0_0_1v@rel64+4
	s_mov_b64 s[4:5], s[48:49]
	s_mov_b64 s[6:7], s[38:39]
	;; [unrolled: 1-line block ×4, first 2 shown]
	s_swap_pc_i64 s[30:31], s[0:1]
	s_mov_b32 s0, 0
.LBB0_489:                              ;   in Loop: Header=BB0_90 Depth=1
	s_delay_alu instid0(SALU_CYCLE_1)
	s_and_not1_b32 vcc_lo, exec_lo, s0
	s_cbranch_vccnz .LBB0_491
; %bb.490:                              ;   in Loop: Header=BB0_90 Depth=1
	v_mov_b32_e32 v31, v40
	s_get_pc_i64 s[0:1]
	s_add_nc_u64 s[0:1], s[0:1], _Z47ncclDevFunc_Reduce_RING_SIMPLE_MinMax_u64_0_0_1v@rel64+4
	s_mov_b64 s[4:5], s[48:49]
	s_mov_b64 s[6:7], s[38:39]
	;; [unrolled: 1-line block ×4, first 2 shown]
	s_swap_pc_i64 s[30:31], s[0:1]
.LBB0_491:                              ;   in Loop: Header=BB0_90 Depth=1
	s_mov_b32 s0, 0
.LBB0_492:                              ;   in Loop: Header=BB0_90 Depth=1
	s_delay_alu instid0(SALU_CYCLE_1)
	s_and_not1_b32 vcc_lo, exec_lo, s0
	s_cbranch_vccnz .LBB0_494
; %bb.493:                              ;   in Loop: Header=BB0_90 Depth=1
	v_mov_b32_e32 v31, v40
	s_get_pc_i64 s[0:1]
	s_add_nc_u64 s[0:1], s[0:1], _Z47ncclDevFunc_Reduce_RING_SIMPLE_MinMax_u32_0_0_1v@rel64+4
	s_mov_b64 s[4:5], s[48:49]
	s_mov_b64 s[6:7], s[38:39]
	;; [unrolled: 1-line block ×4, first 2 shown]
	s_swap_pc_i64 s[30:31], s[0:1]
.LBB0_494:                              ;   in Loop: Header=BB0_90 Depth=1
	s_mov_b32 s0, 0
.LBB0_495:                              ;   in Loop: Header=BB0_90 Depth=1
	s_delay_alu instid0(SALU_CYCLE_1)
	s_and_b32 vcc_lo, exec_lo, s0
	s_cbranch_vccz .LBB0_500
; %bb.496:                              ;   in Loop: Header=BB0_90 Depth=1
	s_cmp_eq_u32 s101, 23
	s_mov_b32 s0, -1
	s_cbranch_scc1 .LBB0_498
; %bb.497:                              ;   in Loop: Header=BB0_90 Depth=1
	v_mov_b32_e32 v31, v40
	s_get_pc_i64 s[0:1]
	s_add_nc_u64 s[0:1], s[0:1], _Z48ncclDevFunc_Reduce_RING_SIMPLE_Prod_f8e5m2_0_0_1v@rel64+4
	s_mov_b64 s[4:5], s[48:49]
	s_mov_b64 s[6:7], s[38:39]
	s_mov_b64 s[8:9], s[50:51]
	s_mov_b64 s[10:11], s[34:35]
	s_swap_pc_i64 s[30:31], s[0:1]
	s_mov_b32 s0, 0
.LBB0_498:                              ;   in Loop: Header=BB0_90 Depth=1
	s_delay_alu instid0(SALU_CYCLE_1)
	s_and_not1_b32 vcc_lo, exec_lo, s0
	s_cbranch_vccnz .LBB0_500
; %bb.499:                              ;   in Loop: Header=BB0_90 Depth=1
	v_mov_b32_e32 v31, v40
	s_get_pc_i64 s[0:1]
	s_add_nc_u64 s[0:1], s[0:1], _Z46ncclDevFunc_Reduce_RING_SIMPLE_MinMax_u8_0_0_1v@rel64+4
	s_mov_b64 s[4:5], s[48:49]
	s_mov_b64 s[6:7], s[38:39]
	;; [unrolled: 1-line block ×4, first 2 shown]
	s_swap_pc_i64 s[30:31], s[0:1]
.LBB0_500:                              ;   in Loop: Header=BB0_90 Depth=1
	s_mov_b32 s0, 0
.LBB0_501:                              ;   in Loop: Header=BB0_90 Depth=1
	s_delay_alu instid0(SALU_CYCLE_1)
	s_and_not1_b32 vcc_lo, exec_lo, s0
	s_cbranch_vccnz .LBB0_576
; %bb.502:                              ;   in Loop: Header=BB0_90 Depth=1
	s_cmp_gt_u32 s101, 10
	s_mov_b32 s0, -1
	s_cbranch_scc0 .LBB0_541
; %bb.503:                              ;   in Loop: Header=BB0_90 Depth=1
	s_cmp_gt_u32 s101, 15
	s_cbranch_scc0 .LBB0_524
; %bb.504:                              ;   in Loop: Header=BB0_90 Depth=1
	s_cmp_gt_u32 s101, 18
	s_cbranch_scc0 .LBB0_514
; %bb.505:                              ;   in Loop: Header=BB0_90 Depth=1
	s_sext_i32_i16 s0, s100
	s_delay_alu instid0(SALU_CYCLE_1)
	s_cmp_lt_i32 s0, 20
	s_mov_b32 s0, -1
	s_cbranch_scc1 .LBB0_511
; %bb.506:                              ;   in Loop: Header=BB0_90 Depth=1
	s_cmp_lg_u32 s101, 20
	s_cbranch_scc0 .LBB0_508
; %bb.507:                              ;   in Loop: Header=BB0_90 Depth=1
	v_mov_b32_e32 v31, v40
	s_get_pc_i64 s[0:1]
	s_add_nc_u64 s[0:1], s[0:1], _Z48ncclDevFunc_Reduce_RING_SIMPLE_Prod_f8e4m3_0_0_1v@rel64+4
	s_mov_b64 s[4:5], s[48:49]
	s_mov_b64 s[6:7], s[38:39]
	;; [unrolled: 1-line block ×4, first 2 shown]
	s_swap_pc_i64 s[30:31], s[0:1]
	s_mov_b32 s0, 0
.LBB0_508:                              ;   in Loop: Header=BB0_90 Depth=1
	s_delay_alu instid0(SALU_CYCLE_1)
	s_and_not1_b32 vcc_lo, exec_lo, s0
	s_cbranch_vccnz .LBB0_510
; %bb.509:                              ;   in Loop: Header=BB0_90 Depth=1
	v_mov_b32_e32 v31, v40
	s_get_pc_i64 s[0:1]
	s_add_nc_u64 s[0:1], s[0:1], _Z46ncclDevFunc_Reduce_RING_SIMPLE_Prod_bf16_0_1_1v@rel64+4
	s_mov_b64 s[4:5], s[48:49]
	s_mov_b64 s[6:7], s[38:39]
	;; [unrolled: 1-line block ×4, first 2 shown]
	s_swap_pc_i64 s[30:31], s[0:1]
.LBB0_510:                              ;   in Loop: Header=BB0_90 Depth=1
	s_mov_b32 s0, 0
.LBB0_511:                              ;   in Loop: Header=BB0_90 Depth=1
	s_delay_alu instid0(SALU_CYCLE_1)
	s_and_not1_b32 vcc_lo, exec_lo, s0
	s_cbranch_vccnz .LBB0_513
; %bb.512:                              ;   in Loop: Header=BB0_90 Depth=1
	v_mov_b32_e32 v31, v40
	s_get_pc_i64 s[0:1]
	s_add_nc_u64 s[0:1], s[0:1], _Z46ncclDevFunc_Reduce_RING_SIMPLE_Prod_bf16_0_0_1v@rel64+4
	s_mov_b64 s[4:5], s[48:49]
	s_mov_b64 s[6:7], s[38:39]
	;; [unrolled: 1-line block ×4, first 2 shown]
	s_swap_pc_i64 s[30:31], s[0:1]
.LBB0_513:                              ;   in Loop: Header=BB0_90 Depth=1
	s_mov_b32 s0, 0
.LBB0_514:                              ;   in Loop: Header=BB0_90 Depth=1
	s_delay_alu instid0(SALU_CYCLE_1)
	s_and_b32 vcc_lo, exec_lo, s0
	s_cbranch_vccz .LBB0_523
; %bb.515:                              ;   in Loop: Header=BB0_90 Depth=1
	s_sext_i32_i16 s0, s100
	s_delay_alu instid0(SALU_CYCLE_1)
	s_cmp_lt_i32 s0, 17
	s_mov_b32 s0, -1
	s_cbranch_scc1 .LBB0_521
; %bb.516:                              ;   in Loop: Header=BB0_90 Depth=1
	s_cmp_lg_u32 s101, 17
	s_cbranch_scc0 .LBB0_518
; %bb.517:                              ;   in Loop: Header=BB0_90 Depth=1
	v_mov_b32_e32 v31, v40
	s_get_pc_i64 s[0:1]
	s_add_nc_u64 s[0:1], s[0:1], _Z45ncclDevFunc_Reduce_RING_SIMPLE_Prod_f64_0_0_1v@rel64+4
	s_mov_b64 s[4:5], s[48:49]
	s_mov_b64 s[6:7], s[38:39]
	s_mov_b64 s[8:9], s[50:51]
	s_mov_b64 s[10:11], s[34:35]
	s_swap_pc_i64 s[30:31], s[0:1]
	s_mov_b32 s0, 0
.LBB0_518:                              ;   in Loop: Header=BB0_90 Depth=1
	s_delay_alu instid0(SALU_CYCLE_1)
	s_and_not1_b32 vcc_lo, exec_lo, s0
	s_cbranch_vccnz .LBB0_520
; %bb.519:                              ;   in Loop: Header=BB0_90 Depth=1
	v_mov_b32_e32 v31, v40
	s_get_pc_i64 s[0:1]
	s_add_nc_u64 s[0:1], s[0:1], _Z45ncclDevFunc_Reduce_RING_SIMPLE_Prod_f32_0_0_1v@rel64+4
	s_mov_b64 s[4:5], s[48:49]
	s_mov_b64 s[6:7], s[38:39]
	;; [unrolled: 1-line block ×4, first 2 shown]
	s_swap_pc_i64 s[30:31], s[0:1]
.LBB0_520:                              ;   in Loop: Header=BB0_90 Depth=1
	s_mov_b32 s0, 0
.LBB0_521:                              ;   in Loop: Header=BB0_90 Depth=1
	s_delay_alu instid0(SALU_CYCLE_1)
	s_and_not1_b32 vcc_lo, exec_lo, s0
	s_cbranch_vccnz .LBB0_523
; %bb.522:                              ;   in Loop: Header=BB0_90 Depth=1
	v_mov_b32_e32 v31, v40
	s_get_pc_i64 s[0:1]
	s_add_nc_u64 s[0:1], s[0:1], _Z45ncclDevFunc_Reduce_RING_SIMPLE_Prod_f16_0_0_1v@rel64+4
	s_mov_b64 s[4:5], s[48:49]
	s_mov_b64 s[6:7], s[38:39]
	;; [unrolled: 1-line block ×4, first 2 shown]
	s_swap_pc_i64 s[30:31], s[0:1]
.LBB0_523:                              ;   in Loop: Header=BB0_90 Depth=1
	s_mov_b32 s0, 0
.LBB0_524:                              ;   in Loop: Header=BB0_90 Depth=1
	s_delay_alu instid0(SALU_CYCLE_1)
	s_and_not1_b32 vcc_lo, exec_lo, s0
	s_cbranch_vccnz .LBB0_540
; %bb.525:                              ;   in Loop: Header=BB0_90 Depth=1
	s_cmp_gt_u32 s101, 12
	s_mov_b32 s0, -1
	s_cbranch_scc0 .LBB0_535
; %bb.526:                              ;   in Loop: Header=BB0_90 Depth=1
	s_sext_i32_i16 s0, s100
	s_delay_alu instid0(SALU_CYCLE_1)
	s_cmp_lt_i32 s0, 14
	s_mov_b32 s0, -1
	s_cbranch_scc1 .LBB0_532
; %bb.527:                              ;   in Loop: Header=BB0_90 Depth=1
	s_cmp_lg_u32 s101, 14
	s_cbranch_scc0 .LBB0_529
; %bb.528:                              ;   in Loop: Header=BB0_90 Depth=1
	v_mov_b32_e32 v31, v40
	s_get_pc_i64 s[0:1]
	s_add_nc_u64 s[0:1], s[0:1], _Z45ncclDevFunc_Reduce_RING_SIMPLE_Prod_u64_0_0_1v@rel64+4
	s_mov_b64 s[4:5], s[48:49]
	s_mov_b64 s[6:7], s[38:39]
	;; [unrolled: 1-line block ×4, first 2 shown]
	s_swap_pc_i64 s[30:31], s[0:1]
	s_mov_b32 s0, 0
.LBB0_529:                              ;   in Loop: Header=BB0_90 Depth=1
	s_delay_alu instid0(SALU_CYCLE_1)
	s_and_not1_b32 vcc_lo, exec_lo, s0
	s_cbranch_vccnz .LBB0_531
; %bb.530:                              ;   in Loop: Header=BB0_90 Depth=1
	v_mov_b32_e32 v31, v40
	s_get_pc_i64 s[0:1]
	s_add_nc_u64 s[0:1], s[0:1], _Z45ncclDevFunc_Reduce_RING_SIMPLE_Prod_u32_0_0_1v@rel64+4
	s_mov_b64 s[4:5], s[48:49]
	s_mov_b64 s[6:7], s[38:39]
	;; [unrolled: 1-line block ×4, first 2 shown]
	s_swap_pc_i64 s[30:31], s[0:1]
.LBB0_531:                              ;   in Loop: Header=BB0_90 Depth=1
	s_mov_b32 s0, 0
.LBB0_532:                              ;   in Loop: Header=BB0_90 Depth=1
	s_delay_alu instid0(SALU_CYCLE_1)
	s_and_not1_b32 vcc_lo, exec_lo, s0
	s_cbranch_vccnz .LBB0_534
; %bb.533:                              ;   in Loop: Header=BB0_90 Depth=1
	v_mov_b32_e32 v31, v40
	s_get_pc_i64 s[0:1]
	s_add_nc_u64 s[0:1], s[0:1], _Z44ncclDevFunc_Reduce_RING_SIMPLE_Prod_u8_0_0_1v@rel64+4
	s_mov_b64 s[4:5], s[48:49]
	s_mov_b64 s[6:7], s[38:39]
	;; [unrolled: 1-line block ×4, first 2 shown]
	s_swap_pc_i64 s[30:31], s[0:1]
.LBB0_534:                              ;   in Loop: Header=BB0_90 Depth=1
	s_mov_b32 s0, 0
.LBB0_535:                              ;   in Loop: Header=BB0_90 Depth=1
	s_delay_alu instid0(SALU_CYCLE_1)
	s_and_b32 vcc_lo, exec_lo, s0
	s_cbranch_vccz .LBB0_540
; %bb.536:                              ;   in Loop: Header=BB0_90 Depth=1
	s_cmp_eq_u32 s101, 12
	s_mov_b32 s0, -1
	s_cbranch_scc1 .LBB0_538
; %bb.537:                              ;   in Loop: Header=BB0_90 Depth=1
	v_mov_b32_e32 v31, v40
	s_get_pc_i64 s[0:1]
	s_add_nc_u64 s[0:1], s[0:1], _Z47ncclDevFunc_Reduce_RING_SIMPLE_Sum_f8e4m3_0_0_1v@rel64+4
	s_mov_b64 s[4:5], s[48:49]
	s_mov_b64 s[6:7], s[38:39]
	s_mov_b64 s[8:9], s[50:51]
	s_mov_b64 s[10:11], s[34:35]
	s_swap_pc_i64 s[30:31], s[0:1]
	s_mov_b32 s0, 0
.LBB0_538:                              ;   in Loop: Header=BB0_90 Depth=1
	s_delay_alu instid0(SALU_CYCLE_1)
	s_and_not1_b32 vcc_lo, exec_lo, s0
	s_cbranch_vccnz .LBB0_540
; %bb.539:                              ;   in Loop: Header=BB0_90 Depth=1
	v_mov_b32_e32 v31, v40
	s_get_pc_i64 s[0:1]
	s_add_nc_u64 s[0:1], s[0:1], _Z47ncclDevFunc_Reduce_RING_SIMPLE_Sum_f8e5m2_0_0_1v@rel64+4
	s_mov_b64 s[4:5], s[48:49]
	s_mov_b64 s[6:7], s[38:39]
	;; [unrolled: 1-line block ×4, first 2 shown]
	s_swap_pc_i64 s[30:31], s[0:1]
.LBB0_540:                              ;   in Loop: Header=BB0_90 Depth=1
	s_mov_b32 s0, 0
.LBB0_541:                              ;   in Loop: Header=BB0_90 Depth=1
	s_delay_alu instid0(SALU_CYCLE_1)
	s_and_not1_b32 vcc_lo, exec_lo, s0
	s_cbranch_vccnz .LBB0_576
; %bb.542:                              ;   in Loop: Header=BB0_90 Depth=1
	s_cmp_gt_u32 s101, 4
	s_mov_b32 s0, -1
	s_cbranch_scc0 .LBB0_563
; %bb.543:                              ;   in Loop: Header=BB0_90 Depth=1
	s_cmp_gt_u32 s101, 7
	s_cbranch_scc0 .LBB0_553
; %bb.544:                              ;   in Loop: Header=BB0_90 Depth=1
	s_sext_i32_i16 s0, s100
	s_delay_alu instid0(SALU_CYCLE_1)
	s_cmp_lt_i32 s0, 9
	s_mov_b32 s0, -1
	s_cbranch_scc1 .LBB0_550
; %bb.545:                              ;   in Loop: Header=BB0_90 Depth=1
	s_cmp_lg_u32 s101, 9
	s_cbranch_scc0 .LBB0_547
; %bb.546:                              ;   in Loop: Header=BB0_90 Depth=1
	v_mov_b32_e32 v31, v40
	s_get_pc_i64 s[0:1]
	s_add_nc_u64 s[0:1], s[0:1], _Z45ncclDevFunc_Reduce_RING_SIMPLE_Sum_bf16_0_1_1v@rel64+4
	s_mov_b64 s[4:5], s[48:49]
	s_mov_b64 s[6:7], s[38:39]
	;; [unrolled: 1-line block ×4, first 2 shown]
	s_swap_pc_i64 s[30:31], s[0:1]
	s_mov_b32 s0, 0
.LBB0_547:                              ;   in Loop: Header=BB0_90 Depth=1
	s_delay_alu instid0(SALU_CYCLE_1)
	s_and_not1_b32 vcc_lo, exec_lo, s0
	s_cbranch_vccnz .LBB0_549
; %bb.548:                              ;   in Loop: Header=BB0_90 Depth=1
	v_mov_b32_e32 v31, v40
	s_get_pc_i64 s[0:1]
	s_add_nc_u64 s[0:1], s[0:1], _Z45ncclDevFunc_Reduce_RING_SIMPLE_Sum_bf16_0_0_1v@rel64+4
	s_mov_b64 s[4:5], s[48:49]
	s_mov_b64 s[6:7], s[38:39]
	;; [unrolled: 1-line block ×4, first 2 shown]
	s_swap_pc_i64 s[30:31], s[0:1]
.LBB0_549:                              ;   in Loop: Header=BB0_90 Depth=1
	s_mov_b32 s0, 0
.LBB0_550:                              ;   in Loop: Header=BB0_90 Depth=1
	s_delay_alu instid0(SALU_CYCLE_1)
	s_and_not1_b32 vcc_lo, exec_lo, s0
	s_cbranch_vccnz .LBB0_552
; %bb.551:                              ;   in Loop: Header=BB0_90 Depth=1
	v_mov_b32_e32 v31, v40
	s_get_pc_i64 s[0:1]
	s_add_nc_u64 s[0:1], s[0:1], _Z44ncclDevFunc_Reduce_RING_SIMPLE_Sum_f64_0_0_1v@rel64+4
	s_mov_b64 s[4:5], s[48:49]
	s_mov_b64 s[6:7], s[38:39]
	;; [unrolled: 1-line block ×4, first 2 shown]
	s_swap_pc_i64 s[30:31], s[0:1]
.LBB0_552:                              ;   in Loop: Header=BB0_90 Depth=1
	s_mov_b32 s0, 0
.LBB0_553:                              ;   in Loop: Header=BB0_90 Depth=1
	s_delay_alu instid0(SALU_CYCLE_1)
	s_and_b32 vcc_lo, exec_lo, s0
	s_cbranch_vccz .LBB0_562
; %bb.554:                              ;   in Loop: Header=BB0_90 Depth=1
	s_sext_i32_i16 s0, s100
	s_delay_alu instid0(SALU_CYCLE_1)
	s_cmp_lt_i32 s0, 6
	s_mov_b32 s0, -1
	s_cbranch_scc1 .LBB0_560
; %bb.555:                              ;   in Loop: Header=BB0_90 Depth=1
	s_cmp_lg_u32 s101, 6
	s_cbranch_scc0 .LBB0_557
; %bb.556:                              ;   in Loop: Header=BB0_90 Depth=1
	v_mov_b32_e32 v31, v40
	s_get_pc_i64 s[0:1]
	s_add_nc_u64 s[0:1], s[0:1], _Z44ncclDevFunc_Reduce_RING_SIMPLE_Sum_f32_0_0_1v@rel64+4
	s_mov_b64 s[4:5], s[48:49]
	s_mov_b64 s[6:7], s[38:39]
	s_mov_b64 s[8:9], s[50:51]
	s_mov_b64 s[10:11], s[34:35]
	s_swap_pc_i64 s[30:31], s[0:1]
	s_mov_b32 s0, 0
.LBB0_557:                              ;   in Loop: Header=BB0_90 Depth=1
	s_delay_alu instid0(SALU_CYCLE_1)
	s_and_not1_b32 vcc_lo, exec_lo, s0
	s_cbranch_vccnz .LBB0_559
; %bb.558:                              ;   in Loop: Header=BB0_90 Depth=1
	v_mov_b32_e32 v31, v40
	s_get_pc_i64 s[0:1]
	s_add_nc_u64 s[0:1], s[0:1], _Z44ncclDevFunc_Reduce_RING_SIMPLE_Sum_f16_0_0_1v@rel64+4
	s_mov_b64 s[4:5], s[48:49]
	s_mov_b64 s[6:7], s[38:39]
	;; [unrolled: 1-line block ×4, first 2 shown]
	s_swap_pc_i64 s[30:31], s[0:1]
.LBB0_559:                              ;   in Loop: Header=BB0_90 Depth=1
	s_mov_b32 s0, 0
.LBB0_560:                              ;   in Loop: Header=BB0_90 Depth=1
	s_delay_alu instid0(SALU_CYCLE_1)
	s_and_not1_b32 vcc_lo, exec_lo, s0
	s_cbranch_vccnz .LBB0_562
; %bb.561:                              ;   in Loop: Header=BB0_90 Depth=1
	v_mov_b32_e32 v31, v40
	s_get_pc_i64 s[0:1]
	s_add_nc_u64 s[0:1], s[0:1], _Z44ncclDevFunc_Reduce_RING_SIMPLE_Sum_u64_0_0_1v@rel64+4
	s_mov_b64 s[4:5], s[48:49]
	s_mov_b64 s[6:7], s[38:39]
	;; [unrolled: 1-line block ×4, first 2 shown]
	s_swap_pc_i64 s[30:31], s[0:1]
.LBB0_562:                              ;   in Loop: Header=BB0_90 Depth=1
	s_mov_b32 s0, 0
.LBB0_563:                              ;   in Loop: Header=BB0_90 Depth=1
	s_delay_alu instid0(SALU_CYCLE_1)
	s_and_not1_b32 vcc_lo, exec_lo, s0
	s_cbranch_vccnz .LBB0_576
; %bb.564:                              ;   in Loop: Header=BB0_90 Depth=1
	s_cmp_gt_u32 s101, 1
	s_mov_b32 s0, -1
	s_cbranch_scc0 .LBB0_574
; %bb.565:                              ;   in Loop: Header=BB0_90 Depth=1
	s_sext_i32_i16 s0, s100
	s_delay_alu instid0(SALU_CYCLE_1)
	s_cmp_lt_i32 s0, 3
	s_mov_b32 s0, -1
	s_cbranch_scc1 .LBB0_571
; %bb.566:                              ;   in Loop: Header=BB0_90 Depth=1
	s_cmp_lg_u32 s101, 3
	s_cbranch_scc0 .LBB0_568
; %bb.567:                              ;   in Loop: Header=BB0_90 Depth=1
	v_mov_b32_e32 v31, v40
	s_get_pc_i64 s[0:1]
	s_add_nc_u64 s[0:1], s[0:1], _Z44ncclDevFunc_Reduce_RING_SIMPLE_Sum_u32_0_0_1v@rel64+4
	s_mov_b64 s[4:5], s[48:49]
	s_mov_b64 s[6:7], s[38:39]
	;; [unrolled: 1-line block ×4, first 2 shown]
	s_swap_pc_i64 s[30:31], s[0:1]
	s_mov_b32 s0, 0
.LBB0_568:                              ;   in Loop: Header=BB0_90 Depth=1
	s_delay_alu instid0(SALU_CYCLE_1)
	s_and_not1_b32 vcc_lo, exec_lo, s0
	s_cbranch_vccnz .LBB0_570
; %bb.569:                              ;   in Loop: Header=BB0_90 Depth=1
	v_mov_b32_e32 v31, v40
	s_get_pc_i64 s[0:1]
	s_add_nc_u64 s[0:1], s[0:1], _Z43ncclDevFunc_Reduce_RING_SIMPLE_Sum_u8_0_0_1v@rel64+4
	s_mov_b64 s[4:5], s[48:49]
	s_mov_b64 s[6:7], s[38:39]
	;; [unrolled: 1-line block ×4, first 2 shown]
	s_swap_pc_i64 s[30:31], s[0:1]
.LBB0_570:                              ;   in Loop: Header=BB0_90 Depth=1
	s_mov_b32 s0, 0
.LBB0_571:                              ;   in Loop: Header=BB0_90 Depth=1
	s_delay_alu instid0(SALU_CYCLE_1)
	s_and_not1_b32 vcc_lo, exec_lo, s0
	s_cbranch_vccnz .LBB0_573
; %bb.572:                              ;   in Loop: Header=BB0_90 Depth=1
	v_mov_b32_e32 v31, v40
	s_get_pc_i64 s[0:1]
	s_add_nc_u64 s[0:1], s[0:1], _Z46ncclDevFunc_Broadcast_RING_SIMPLE_Sum_i8_0_0_1v@rel64+4
	s_mov_b64 s[4:5], s[48:49]
	s_mov_b64 s[6:7], s[38:39]
	;; [unrolled: 1-line block ×4, first 2 shown]
	s_swap_pc_i64 s[30:31], s[0:1]
.LBB0_573:                              ;   in Loop: Header=BB0_90 Depth=1
	s_mov_b32 s0, 0
.LBB0_574:                              ;   in Loop: Header=BB0_90 Depth=1
	s_delay_alu instid0(SALU_CYCLE_1)
	s_and_b32 vcc_lo, exec_lo, s0
	s_cbranch_vccz .LBB0_576
; %bb.575:                              ;   in Loop: Header=BB0_90 Depth=1
	v_mov_b32_e32 v31, v40
	s_get_pc_i64 s[0:1]
	s_add_nc_u64 s[0:1], s[0:1], _Z42ncclDevFunc_Broadcast_RING_LL_Sum_i8_0_0_1v@rel64+4
	s_mov_b64 s[4:5], s[48:49]
	s_mov_b64 s[6:7], s[38:39]
	;; [unrolled: 1-line block ×4, first 2 shown]
	s_swap_pc_i64 s[30:31], s[0:1]
.LBB0_576:                              ;   in Loop: Header=BB0_90 Depth=1
	ds_load_b32 v0, v41 offset:17060
	s_wait_dscnt 0x0
	v_cmp_eq_u32_e32 vcc_lo, -1, v0
	v_readfirstlane_b32 s2, v0
	s_cbranch_vccnz .LBB0_591
; %bb.577:                              ;   in Loop: Header=BB0_90 Depth=1
	s_wait_storecnt 0x0
	s_barrier_signal -1
	s_barrier_wait -1
	s_and_saveexec_b32 s0, s104
	s_cbranch_execz .LBB0_581
; %bb.578:                              ;   in Loop: Header=BB0_90 Depth=1
	s_and_saveexec_b32 s1, s52
; %bb.579:                              ;   in Loop: Header=BB0_90 Depth=1
	ds_store_b64 v41, v[42:43] offset:21208
; %bb.580:                              ;   in Loop: Header=BB0_90 Depth=1
	s_or_b32 exec_lo, exec_lo, s1
	ds_store_b64 v45, v[42:43]
.LBB0_581:                              ;   in Loop: Header=BB0_90 Depth=1
	s_or_b32 exec_lo, exec_lo, s0
	s_and_saveexec_b32 s0, s33
	s_cbranch_execz .LBB0_593
; %bb.582:                              ;   in Loop: Header=BB0_90 Depth=1
	ds_load_b32 v2, v41 offset:17068
	ds_load_b64 v[4:5], v41 offset:17040
	s_wait_dscnt 0x1
	v_ashrrev_i32_e32 v3, 31, v2
	s_wait_dscnt 0x0
	v_add_nc_u64_e32 v[0:1], 1, v[4:5]
	s_delay_alu instid0(VALU_DEP_2) | instskip(NEXT) | instid1(VALU_DEP_1)
	v_add_nc_u64_e32 v[6:7], v[4:5], v[2:3]
	v_cmp_gt_u64_e32 vcc_lo, v[0:1], v[6:7]
	s_cbranch_vccnz .LBB0_592
; %bb.583:                              ;   in Loop: Header=BB0_90 Depth=1
	ds_load_u8 v8, v41 offset:17064
	s_movk_i32 s1, 0x4f0e
	s_movk_i32 s3, 0x4eda
	s_branch .LBB0_585
.LBB0_584:                              ;   in Loop: Header=BB0_585 Depth=2
	s_wait_dscnt 0x0
	v_ashrrev_i32_e32 v3, 31, v2
	v_add_nc_u64_e32 v[0:1], 1, v[0:1]
	s_add_co_i32 s1, s1, 64
	s_addk_co_i32 s3, 0x80
	s_delay_alu instid0(VALU_DEP_2) | instskip(NEXT) | instid1(VALU_DEP_1)
	v_add_nc_u64_e32 v[6:7], v[4:5], v[2:3]
	v_cmp_le_u64_e32 vcc_lo, v[0:1], v[6:7]
	s_cbranch_vccz .LBB0_592
.LBB0_585:                              ;   Parent Loop BB0_90 Depth=1
                                        ; =>  This Inner Loop Header: Depth=2
	s_wait_dscnt 0x0
	v_and_b32_e32 v3, 0xff, v8
	s_delay_alu instid0(VALU_DEP_1)
	v_cmp_ne_u32_e32 vcc_lo, 0, v3
	s_cbranch_vccz .LBB0_590
; %bb.586:                              ;   in Loop: Header=BB0_585 Depth=2
	v_mov_b32_e32 v3, s3
	ds_load_u8 v3, v3
	s_wait_dscnt 0x0
	v_and_b32_e32 v3, 1, v3
	s_cbranch_execnz .LBB0_588
.LBB0_587:                              ;   in Loop: Header=BB0_585 Depth=2
	v_mov_b32_e32 v3, s1
	ds_load_u16 v3, v3
	s_wait_dscnt 0x0
	v_bfe_u32 v3, v3, 6, 1
.LBB0_588:                              ;   in Loop: Header=BB0_585 Depth=2
	s_delay_alu instid0(VALU_DEP_1)
	v_cmp_eq_u32_e32 vcc_lo, 0, v3
	s_cbranch_vccnz .LBB0_584
; %bb.589:                              ;   in Loop: Header=BB0_585 Depth=2
	s_sendmsg_rtn_b64 s[4:5], sendmsg(MSG_RTN_GET_REALTIME)
	ds_load_u8 v8, v41 offset:17064
	ds_load_b32 v2, v41 offset:16560
	ds_load_b64 v[4:5], v41 offset:16664
	s_wait_dscnt 0x1
	v_dual_ashrrev_i32 v3, 31, v2 :: v_dual_bitop2_b32 v6, 63, v0 bitop3:0x40
	s_delay_alu instid0(VALU_DEP_1) | instskip(SKIP_1) | instid1(VALU_DEP_1)
	v_lshlrev_b64_e32 v[2:3], 10, v[2:3]
	s_wait_dscnt 0x0
	v_add_nc_u64_e32 v[4:5], v[4:5], v[2:3]
	s_wait_kmcnt 0x0
	v_dual_mov_b32 v2, s4 :: v_dual_mov_b32 v3, s5
	s_delay_alu instid0(VALU_DEP_2) | instskip(NEXT) | instid1(VALU_DEP_3)
	v_readfirstlane_b32 s4, v4
	v_readfirstlane_b32 s5, v5
	flat_store_b128 v6, v[0:3], s[4:5] scale_offset
	ds_load_b64 v[4:5], v41 offset:17040
	s_wait_xcnt 0x0
	ds_load_b32 v2, v41 offset:17068
	s_branch .LBB0_584
.LBB0_590:                              ;   in Loop: Header=BB0_585 Depth=2
                                        ; implicit-def: $vgpr3
	s_branch .LBB0_587
.LBB0_591:                              ;   in Loop: Header=BB0_90 Depth=1
	s_cbranch_execz .LBB0_90
	s_branch .LBB0_76
.LBB0_592:                              ;   in Loop: Header=BB0_90 Depth=1
	ds_store_b64 v41, v[6:7] offset:17040
.LBB0_593:                              ;   in Loop: Header=BB0_90 Depth=1
	s_or_b32 exec_lo, exec_lo, s0
	v_mov_b32_e32 v8, v44
	s_mov_b32 s8, 0
                                        ; implicit-def: $vgpr0_vgpr1_vgpr2_vgpr3
	s_branch .LBB0_596
.LBB0_594:                              ;   in Loop: Header=BB0_596 Depth=2
	s_or_b32 exec_lo, exec_lo, s5
	v_mov_b32_e32 v4, v8
	s_mov_b32 s5, s2
.LBB0_595:                              ;   in Loop: Header=BB0_596 Depth=2
	s_delay_alu instid0(VALU_DEP_1)
	v_mov_b32_e32 v8, v4
	s_and_not1_b32 vcc_lo, exec_lo, s1
	s_mov_b32 s2, s5
	s_cbranch_vccz .LBB0_89
.LBB0_596:                              ;   Parent Loop BB0_90 Depth=1
                                        ; =>  This Inner Loop Header: Depth=2
	s_ashr_i32 s3, s2, 31
	s_delay_alu instid0(SALU_CYCLE_1) | instskip(NEXT) | instid1(SALU_CYCLE_1)
	s_lshl_b64 s[0:1], s[2:3], 4
	s_add_nc_u64 s[0:1], s[36:37], s[0:1]
	s_load_b128 s[4:7], s[0:1], 0x30
	s_wait_xcnt 0x0
	s_mov_b32 s0, exec_lo
	s_wait_kmcnt 0x0
	v_and_b32_e32 v4, s6, v47
	s_delay_alu instid0(VALU_DEP_1)
	v_cmpx_ne_u32_e32 0, v4
; %bb.597:                              ;   in Loop: Header=BB0_596 Depth=2
	v_and_b32_e32 v4, s6, v56
	s_delay_alu instid0(VALU_DEP_1)
	v_bcnt_u32_b32 v4, v4, v46
	ds_store_b8 v4, v44
; %bb.598:                              ;   in Loop: Header=BB0_596 Depth=2
	s_or_b32 exec_lo, exec_lo, s0
	v_and_b32_e32 v4, s7, v47
	s_bcnt1_i32_b32 s0, s6
	s_mov_b32 s1, exec_lo
	s_delay_alu instid0(VALU_DEP_1)
	v_cmpx_ne_u32_e32 0, v4
	s_cbranch_execz .LBB0_600
; %bb.599:                              ;   in Loop: Header=BB0_596 Depth=2
	v_and_b32_e32 v4, s7, v56
	s_delay_alu instid0(VALU_DEP_1) | instskip(NEXT) | instid1(VALU_DEP_1)
	v_bcnt_u32_b32 v4, v4, 0
	v_add3_u32 v4, v46, s0, v4
	ds_store_b8 v4, v57
.LBB0_600:                              ;   in Loop: Header=BB0_596 Depth=2
	s_or_b32 exec_lo, exec_lo, s1
	s_bcnt1_i32_b32 s6, s7
	s_bfe_u32 s3, s4, 0x2000f
	s_add_co_i32 s6, s6, s0
	s_cmp_lt_i32 s3, 1
	s_mov_b32 s0, -1
                                        ; implicit-def: $vgpr9
                                        ; implicit-def: $vgpr10
                                        ; implicit-def: $vgpr4
                                        ; implicit-def: $vgpr11
	s_cbranch_scc1 .LBB0_608
; %bb.601:                              ;   in Loop: Header=BB0_596 Depth=2
	s_cmp_lg_u32 s3, 1
                                        ; implicit-def: $vgpr9
                                        ; implicit-def: $vgpr10
                                        ; implicit-def: $vgpr4
	s_cbranch_scc0 .LBB0_603
; %bb.602:                              ;   in Loop: Header=BB0_596 Depth=2
	v_mul_hi_i32 v4, 0x66666667, v8
	s_mov_b32 s0, 0
	s_delay_alu instid0(VALU_DEP_1) | instskip(NEXT) | instid1(VALU_DEP_1)
	v_dual_lshrrev_b32 v5, 31, v4 :: v_dual_ashrrev_i32 v4, 3, v4
	v_add_nc_u32_e32 v9, v4, v5
	v_mul_u32_u24_e64 v4, s6, 20
	s_delay_alu instid0(VALU_DEP_2) | instskip(NEXT) | instid1(VALU_DEP_1)
	v_mul_lo_u32 v5, v9, 20
	v_sub_nc_u32_e32 v10, v8, v5
.LBB0_603:                              ;   in Loop: Header=BB0_596 Depth=2
	s_and_not1_b32 vcc_lo, exec_lo, s0
	s_movk_i32 s0, 0x140
	s_cbranch_vccnz .LBB0_605
; %bb.604:                              ;   in Loop: Header=BB0_596 Depth=2
	v_ashrrev_i32_e32 v4, 31, v8
	s_lshl_b32 s0, s6, 3
	s_delay_alu instid0(VALU_DEP_1) | instskip(NEXT) | instid1(VALU_DEP_1)
	v_lshrrev_b32_e32 v4, 29, v4
	v_add_nc_u32_e32 v4, v8, v4
	s_delay_alu instid0(VALU_DEP_1) | instskip(SKIP_2) | instid1(VALU_DEP_2)
	v_dual_ashrrev_i32 v9, 3, v4 :: v_dual_bitop2_b32 v5, -8, v4 bitop3:0x40
	v_mov_b32_e32 v4, s0
	s_movk_i32 s0, 0x80
	v_sub_nc_u32_e32 v10, v8, v5
.LBB0_605:                              ;   in Loop: Header=BB0_596 Depth=2
	v_mov_b32_e32 v11, s0
	s_cbranch_execz .LBB0_609
.LBB0_606:                              ;   in Loop: Header=BB0_596 Depth=2
	v_cmp_eq_u32_e64 s0, 0, v8
	s_and_saveexec_b32 s1, s0
	s_cbranch_execz .LBB0_610
.LBB0_607:                              ;   in Loop: Header=BB0_596 Depth=2
	ds_store_b32 v41, v11 offset:17072
	s_or_b32 exec_lo, exec_lo, s1
	s_delay_alu instid0(SALU_CYCLE_1)
	s_mov_b32 s7, exec_lo
	v_cmpx_lt_i32_e64 v8, v4
	s_cbranch_execz .LBB0_618
	s_branch .LBB0_611
.LBB0_608:                              ;   in Loop: Header=BB0_596 Depth=2
	s_and_not1_b32 vcc_lo, exec_lo, s0
	s_cbranch_vccnz .LBB0_606
.LBB0_609:                              ;   in Loop: Header=BB0_596 Depth=2
	v_dual_mov_b32 v11, 64 :: v_dual_ashrrev_i32 v4, 31, v8
	s_lshl_b32 s0, s6, 2
	s_delay_alu instid0(VALU_DEP_1) | instskip(NEXT) | instid1(VALU_DEP_1)
	v_lshrrev_b32_e32 v4, 30, v4
	v_add_nc_u32_e32 v4, v8, v4
	s_delay_alu instid0(VALU_DEP_1) | instskip(NEXT) | instid1(VALU_DEP_1)
	v_dual_ashrrev_i32 v9, 2, v4 :: v_dual_bitop2_b32 v5, -4, v4 bitop3:0x40
	v_dual_mov_b32 v4, s0 :: v_dual_sub_nc_u32 v10, v8, v5
	v_cmp_eq_u32_e64 s0, 0, v8
	s_and_saveexec_b32 s1, s0
	s_cbranch_execnz .LBB0_607
.LBB0_610:                              ;   in Loop: Header=BB0_596 Depth=2
	s_or_b32 exec_lo, exec_lo, s1
	s_delay_alu instid0(SALU_CYCLE_1)
	s_mov_b32 s7, exec_lo
	v_cmpx_lt_i32_e64 v8, v4
	s_cbranch_execz .LBB0_618
.LBB0_611:                              ;   in Loop: Header=BB0_596 Depth=2
	ds_load_u8 v4, v41 offset:16536
	v_dual_add_nc_u32 v5, v46, v9 :: v_dual_lshlrev_b32 v12, 4, v10
	ds_load_u8 v14, v5
	s_wait_dscnt 0x1
	v_cmp_ne_u32_e64 s1, 0, v4
	s_and_b32 vcc_lo, exec_lo, s1
	s_cbranch_vccz .LBB0_614
; %bb.612:                              ;   in Loop: Header=BB0_596 Depth=2
	s_and_b32 vcc_lo, exec_lo, s1
	s_mov_b32 s1, -1
                                        ; implicit-def: $vgpr4_vgpr5_vgpr6_vgpr7
                                        ; implicit-def: $vgpr13
	s_cbranch_vccz .LBB0_615
.LBB0_613:                              ;   in Loop: Header=BB0_596 Depth=2
	ds_load_b32 v6, v41 offset:16540
	ds_load_b64 v[4:5], v41 offset:16544
	s_wait_dscnt 0x2
	v_mul_u32_u24_e32 v7, v11, v14
	v_lshlrev_b32_e32 v13, 4, v10
	s_delay_alu instid0(VALU_DEP_1) | instskip(SKIP_1) | instid1(VALU_DEP_1)
	v_add3_u32 v7, v13, s5, v7
	s_wait_dscnt 0x1
	v_and_b32_e32 v6, v6, v7
	s_wait_dscnt 0x0
	v_readfirstlane_b32 s10, v4
	v_readfirstlane_b32 s11, v5
	flat_load_b128 v[4:7], v6, s[10:11]
	s_cbranch_execz .LBB0_616
	s_branch .LBB0_617
.LBB0_614:                              ;   in Loop: Header=BB0_596 Depth=2
	s_wait_dscnt 0x0
	v_mul_u32_u24_e32 v0, v11, v14
	v_lshlrev_b32_e32 v1, 4, v10
	s_delay_alu instid0(VALU_DEP_1)
	v_add3_u32 v0, v1, s5, v0
	global_load_b128 v[0:3], v0, s[36:37]
	s_and_b32 vcc_lo, exec_lo, s1
	s_mov_b32 s1, -1
                                        ; implicit-def: $vgpr4_vgpr5_vgpr6_vgpr7
                                        ; implicit-def: $vgpr13
	s_cbranch_vccnz .LBB0_613
.LBB0_615:                              ;   in Loop: Header=BB0_596 Depth=2
	s_and_not1_b32 vcc_lo, exec_lo, s1
	s_cbranch_vccnz .LBB0_617
.LBB0_616:                              ;   in Loop: Header=BB0_596 Depth=2
	s_wait_loadcnt_dscnt 0x0
	v_mov_b64_e32 v[6:7], v[2:3]
	v_mov_b64_e32 v[4:5], v[0:1]
	v_mov_b32_e32 v13, v12
.LBB0_617:                              ;   in Loop: Header=BB0_596 Depth=2
	s_wait_loadcnt 0x0
	v_add_nc_u32_e32 v0, s8, v9
	s_delay_alu instid0(VALU_DEP_1) | instskip(SKIP_1) | instid1(VALU_DEP_4)
	v_mad_u32 v9, v0, v11, v13
	s_wait_dscnt 0x0
	v_mov_b64_e32 v[0:1], v[4:5]
	v_mov_b64_e32 v[2:3], v[6:7]
	ds_store_b128 v9, v[4:7] offset:20176
.LBB0_618:                              ;   in Loop: Header=BB0_596 Depth=2
	s_or_b32 exec_lo, exec_lo, s7
	s_bitcmp0_b32 s4, 14
	v_readfirstlane_b32 s5, v0
	s_cselect_b32 s1, -1, 0
	s_mov_b32 s7, -1
	s_and_b32 vcc_lo, exec_lo, s1
                                        ; implicit-def: $vgpr4
	s_cbranch_vccnz .LBB0_620
; %bb.619:                              ;   in Loop: Header=BB0_596 Depth=2
	v_cmp_gt_i32_e32 vcc_lo, 64, v8
	s_and_b32 s5, s4, 0x3fff
	s_delay_alu instid0(SALU_CYCLE_1) | instskip(SKIP_1) | instid1(VALU_DEP_1)
	s_add_co_i32 s5, s5, s2
	v_cndmask_b32_e64 v4, 0, s53, vcc_lo
	v_add3_u32 v4, v8, v4, 0xffffffc0
	s_add_co_i32 s8, s6, s8
	s_cbranch_execnz .LBB0_595
	s_branch .LBB0_621
.LBB0_620:                              ;   in Loop: Header=BB0_596 Depth=2
	s_and_not1_b32 vcc_lo, exec_lo, s7
	s_add_co_i32 s8, s6, s8
	s_cbranch_vccnz .LBB0_595
.LBB0_621:                              ;   in Loop: Header=BB0_596 Depth=2
	s_and_saveexec_b32 s5, s0
	s_cbranch_execz .LBB0_594
; %bb.622:                              ;   in Loop: Header=BB0_596 Depth=2
	s_and_b32 s0, s4, 0x3fff
	v_dual_mov_b32 v4, s2 :: v_dual_mov_b32 v6, s3
	s_add_co_i32 s6, s0, s2
	s_cmp_lg_u32 s0, 0
	v_mov_b32_e32 v7, s8
	s_cselect_b32 s0, s6, -1
	s_delay_alu instid0(SALU_CYCLE_1) | instskip(SKIP_1) | instid1(SALU_CYCLE_1)
	v_dual_mov_b32 v8, 0 :: v_dual_mov_b32 v5, s0
	s_lshr_b32 s0, s4, 17
	v_mov_b32_e32 v9, s0
	ds_store_b64 v41, v[4:5] offset:17056
	ds_store_b8 v41, v6 offset:17064
	ds_store_b32 v41, v7 offset:17068
	ds_store_b16 v41, v9 offset:17066
	s_branch .LBB0_594
	.section	.rodata,"a",@progbits
	.p2align	6, 0x0
	.amdhsa_kernel _Z23ncclDevKernel_Generic_124ncclDevKernelArgsStorageILm4096EE
		.amdhsa_group_segment_fixed_size 21216
		.amdhsa_private_segment_fixed_size 16
		.amdhsa_kernarg_size 4352
		.amdhsa_user_sgpr_count 8
		.amdhsa_user_sgpr_dispatch_ptr 1
		.amdhsa_user_sgpr_queue_ptr 1
		.amdhsa_user_sgpr_kernarg_segment_ptr 1
		.amdhsa_user_sgpr_dispatch_id 1
		.amdhsa_user_sgpr_kernarg_preload_length 0
		.amdhsa_user_sgpr_kernarg_preload_offset 0
		.amdhsa_user_sgpr_private_segment_size 0
		.amdhsa_wavefront_size32 1
		.amdhsa_uses_dynamic_stack 1
		.amdhsa_enable_private_segment 1
		.amdhsa_system_sgpr_workgroup_id_x 1
		.amdhsa_system_sgpr_workgroup_id_y 1
		.amdhsa_system_sgpr_workgroup_id_z 1
		.amdhsa_system_sgpr_workgroup_info 0
		.amdhsa_system_vgpr_workitem_id 2
		.amdhsa_next_free_vgpr max(totalnumvgprs(_Z23ncclDevKernel_Generic_124ncclDevKernelArgsStorageILm4096EE.num_agpr, _Z23ncclDevKernel_Generic_124ncclDevKernelArgsStorageILm4096EE.num_vgpr), 1, 0)
		.amdhsa_next_free_sgpr max(_Z23ncclDevKernel_Generic_124ncclDevKernelArgsStorageILm4096EE.numbered_sgpr+2, 1, 0)-2
		.amdhsa_named_barrier_count (((((alignto(_Z23ncclDevKernel_Generic_124ncclDevKernelArgsStorageILm4096EE.num_named_barrier, 4)/4)<<14)&~4080)|1952)&114688)>>14
		.amdhsa_reserve_vcc 1
		.amdhsa_float_round_mode_32 0
		.amdhsa_float_round_mode_16_64 0
		.amdhsa_float_denorm_mode_32 3
		.amdhsa_float_denorm_mode_16_64 3
		.amdhsa_fp16_overflow 0
		.amdhsa_memory_ordered 1
		.amdhsa_forward_progress 1
		.amdhsa_inst_pref_size 122
		.amdhsa_round_robin_scheduling 0
		.amdhsa_exception_fp_ieee_invalid_op 0
		.amdhsa_exception_fp_denorm_src 0
		.amdhsa_exception_fp_ieee_div_zero 0
		.amdhsa_exception_fp_ieee_overflow 0
		.amdhsa_exception_fp_ieee_underflow 0
		.amdhsa_exception_fp_ieee_inexact 0
		.amdhsa_exception_int_div_zero 0
	.end_amdhsa_kernel
	.text
.Lfunc_end0:
	.size	_Z23ncclDevKernel_Generic_124ncclDevKernelArgsStorageILm4096EE, .Lfunc_end0-_Z23ncclDevKernel_Generic_124ncclDevKernelArgsStorageILm4096EE
                                        ; -- End function
	.set _Z23ncclDevKernel_Generic_124ncclDevKernelArgsStorageILm4096EE.num_vgpr, max(59, amdgpu.max_num_vgpr)
	.set _Z23ncclDevKernel_Generic_124ncclDevKernelArgsStorageILm4096EE.num_agpr, max(0, amdgpu.max_num_agpr)
	.set _Z23ncclDevKernel_Generic_124ncclDevKernelArgsStorageILm4096EE.numbered_sgpr, max(106, amdgpu.max_num_sgpr)
	.set _Z23ncclDevKernel_Generic_124ncclDevKernelArgsStorageILm4096EE.num_named_barrier, max(0, amdgpu.max_num_named_barrier)
	.set _Z23ncclDevKernel_Generic_124ncclDevKernelArgsStorageILm4096EE.private_seg_size, 16
	.set _Z23ncclDevKernel_Generic_124ncclDevKernelArgsStorageILm4096EE.uses_vcc, 1
	.set _Z23ncclDevKernel_Generic_124ncclDevKernelArgsStorageILm4096EE.uses_flat_scratch, 1
	.set _Z23ncclDevKernel_Generic_124ncclDevKernelArgsStorageILm4096EE.has_dyn_sized_stack, 1
	.set _Z23ncclDevKernel_Generic_124ncclDevKernelArgsStorageILm4096EE.has_recursion, 1
	.set _Z23ncclDevKernel_Generic_124ncclDevKernelArgsStorageILm4096EE.has_indirect_call, 1
	.section	.AMDGPU.csdata,"",@progbits
; Kernel info:
; codeLenInByte = 15524
; TotalNumSgprs: _Z23ncclDevKernel_Generic_124ncclDevKernelArgsStorageILm4096EE.numbered_sgpr+2
; NumVgprs: _Z23ncclDevKernel_Generic_124ncclDevKernelArgsStorageILm4096EE.num_vgpr
; ScratchSize: 16
; MemoryBound: 0
; FloatMode: 240
; IeeeMode: 1
; LDSByteSize: 21216 bytes/workgroup (compile time only)
; SGPRBlocks: 0
; VGPRBlocks: (alignto(max(max(totalnumvgprs(_Z23ncclDevKernel_Generic_124ncclDevKernelArgsStorageILm4096EE.num_agpr, _Z23ncclDevKernel_Generic_124ncclDevKernelArgsStorageILm4096EE.num_vgpr), 1, 0), 1), 16)/16)-1
; NumSGPRsForWavesPerEU: max(_Z23ncclDevKernel_Generic_124ncclDevKernelArgsStorageILm4096EE.numbered_sgpr+2, 1, 0)
; NumVGPRsForWavesPerEU: max(totalnumvgprs(_Z23ncclDevKernel_Generic_124ncclDevKernelArgsStorageILm4096EE.num_agpr, _Z23ncclDevKernel_Generic_124ncclDevKernelArgsStorageILm4096EE.num_vgpr), 1, 0)
; NamedBarCnt: alignto(_Z23ncclDevKernel_Generic_124ncclDevKernelArgsStorageILm4096EE.num_named_barrier, 4)/4
; Occupancy: occupancy(16, 16, 1024, 11, 16, max(_Z23ncclDevKernel_Generic_124ncclDevKernelArgsStorageILm4096EE.numbered_sgpr+extrasgprs(_Z23ncclDevKernel_Generic_124ncclDevKernelArgsStorageILm4096EE.uses_vcc, _Z23ncclDevKernel_Generic_124ncclDevKernelArgsStorageILm4096EE.uses_flat_scratch, 1), 1, 0), max(totalnumvgprs(_Z23ncclDevKernel_Generic_124ncclDevKernelArgsStorageILm4096EE.num_agpr, _Z23ncclDevKernel_Generic_124ncclDevKernelArgsStorageILm4096EE.num_vgpr), 1, 0))
; WaveLimiterHint : 0
; COMPUTE_PGM_RSRC2:SCRATCH_EN: 1
; COMPUTE_PGM_RSRC2:USER_SGPR: 8
; COMPUTE_PGM_RSRC2:TRAP_HANDLER: 0
; COMPUTE_PGM_RSRC2:TGID_X_EN: 1
; COMPUTE_PGM_RSRC2:TGID_Y_EN: 1
; COMPUTE_PGM_RSRC2:TGID_Z_EN: 1
; COMPUTE_PGM_RSRC2:TIDIG_COMP_CNT: 2
	.text
	.protected	_Z23ncclDevKernel_Generic_224ncclDevKernelArgsStorageILm4096EE ; -- Begin function _Z23ncclDevKernel_Generic_224ncclDevKernelArgsStorageILm4096EE
	.globl	_Z23ncclDevKernel_Generic_224ncclDevKernelArgsStorageILm4096EE
	.p2align	8
	.type	_Z23ncclDevKernel_Generic_224ncclDevKernelArgsStorageILm4096EE,@function
_Z23ncclDevKernel_Generic_224ncclDevKernelArgsStorageILm4096EE: ; @_Z23ncclDevKernel_Generic_224ncclDevKernelArgsStorageILm4096EE
; %bb.0:
	v_mov_b32_e32 v40, v0
	s_mov_b64 s[34:35], s[6:7]
	s_mov_b64 s[36:37], s[4:5]
	;; [unrolled: 1-line block ×4, first 2 shown]
	v_and_b32_e32 v8, 0x3ff, v40
	s_mov_b32 s0, exec_lo
	s_mov_b32 s32, 16
	s_delay_alu instid0(VALU_DEP_1)
	v_cmpx_gt_u32_e32 12, v8
	s_cbranch_execz .LBB1_2
; %bb.1:
	global_load_b32 v0, v8, s[36:37] scale_offset
	v_lshlrev_b32_e32 v1, 2, v8
	s_wait_loadcnt 0x0
	ds_store_b32 v1, v0 offset:16512
.LBB1_2:
	s_or_b32 exec_lo, exec_lo, s0
	s_load_b32 s3, s[36:37], 0x100c
	s_bfe_u32 s0, ttmp6, 0x4000c
	s_and_b32 s1, ttmp6, 15
	s_add_co_i32 s0, s0, 1
	s_getreg_b32 s2, hwreg(HW_REG_IB_STS2, 6, 4)
	s_mul_i32 s0, ttmp9, s0
	v_lshrrev_b32_e32 v9, 5, v8
	s_add_co_i32 s1, s1, s0
	s_cmp_eq_u32 s2, 0
	s_mov_b32 s0, exec_lo
	s_cselect_b32 s2, ttmp9, s1
	v_cmpx_lt_i32_e32 0, v9
	s_xor_b32 s0, exec_lo, s0
	s_cbranch_execz .LBB1_16
; %bb.3:
	s_mov_b32 s1, exec_lo
	v_cmpx_lt_i32_e32 2, v9
	s_xor_b32 s1, exec_lo, s1
	s_cbranch_execz .LBB1_8
; %bb.4:
	s_mov_b32 s4, exec_lo
	v_cmpx_eq_u32_e32 3, v9
	s_cbranch_execz .LBB1_7
; %bb.5:
	v_cmp_eq_u32_e32 vcc_lo, 0x60, v8
	s_and_b32 exec_lo, exec_lo, vcc_lo
; %bb.6:
	v_mov_b32_e32 v0, 0
	ds_store_b32 v0, v0 offset:16564
.LBB1_7:
	s_or_b32 exec_lo, exec_lo, s4
.LBB1_8:
	s_and_not1_saveexec_b32 s1, s1
	s_cbranch_execz .LBB1_15
; %bb.9:
	s_mov_b32 s4, exec_lo
	v_cmpx_eq_u32_e32 1, v9
	s_cbranch_execz .LBB1_14
; %bb.10:
	v_cmp_gt_u32_e32 vcc_lo, 40, v8
	s_and_b32 exec_lo, exec_lo, vcc_lo
	s_cbranch_execz .LBB1_14
; %bb.11:
	s_mov_b32 s5, exec_lo
	v_cmpx_eq_u32_e32 32, v8
; %bb.12:
	v_mov_b64_e32 v[0:1], 0
	v_mov_b32_e32 v2, 0
	ds_store_b64 v2, v[0:1] offset:21208
; %bb.13:
	s_or_b32 exec_lo, exec_lo, s5
	v_mov_b64_e32 v[0:1], 0
	v_mul_u32_u24_e32 v2, 0x160, v8
	ds_store_b64 v2, v[0:1] offset:6104
.LBB1_14:
	s_or_b32 exec_lo, exec_lo, s4
.LBB1_15:
	s_delay_alu instid0(SALU_CYCLE_1)
	s_or_b32 exec_lo, exec_lo, s1
.LBB1_16:
	s_and_not1_saveexec_b32 s6, s0
	s_cbranch_execz .LBB1_32
; %bb.17:
	s_load_b64 s[0:1], s[36:37], 0x8
	v_lshlrev_b64_e64 v[0:1], v8, 1
	s_mov_b32 s7, 0
	s_mov_b32 s5, exec_lo
	s_wait_kmcnt 0x0
	s_delay_alu instid0(VALU_DEP_1) | instskip(NEXT) | instid1(VALU_DEP_2)
	v_and_b32_e32 v3, s1, v1
	v_and_b32_e32 v2, s0, v0
	s_delay_alu instid0(VALU_DEP_1)
	v_cmp_eq_u64_e64 s4, 0, v[2:3]
	v_cmpx_ne_u64_e32 0, v[2:3]
	s_cbranch_execz .LBB1_19
; %bb.18:
	v_add_nc_u64_e32 v[0:1], -1, v[0:1]
	s_and_not1_b32 s4, s4, exec_lo
	s_mov_b32 s7, exec_lo
	s_delay_alu instid0(VALU_DEP_1) | instskip(NEXT) | instid1(VALU_DEP_2)
	v_and_b32_e32 v0, s0, v0
	v_and_b32_e32 v1, s1, v1
	s_delay_alu instid0(VALU_DEP_2) | instskip(NEXT) | instid1(VALU_DEP_1)
	v_bcnt_u32_b32 v0, v0, 0
	v_bcnt_u32_b32 v0, v1, v0
	s_delay_alu instid0(VALU_DEP_1) | instskip(SKIP_1) | instid1(SALU_CYCLE_1)
	v_cmp_ne_u32_e32 vcc_lo, s2, v0
	s_and_b32 s8, vcc_lo, exec_lo
	s_or_b32 s4, s4, s8
.LBB1_19:
	s_or_b32 exec_lo, exec_lo, s5
	v_dual_mov_b32 v0, 0 :: v_dual_mov_b32 v4, v8
	s_and_saveexec_b32 s8, s4
	s_cbranch_execz .LBB1_29
; %bb.20:
	v_add_nc_u32_e32 v4, 32, v8
	s_mov_b32 s5, exec_lo
	s_delay_alu instid0(VALU_DEP_1) | instskip(NEXT) | instid1(VALU_DEP_1)
	v_lshlrev_b64_e64 v[2:3], v4, 1
	v_and_b32_e32 v7, s1, v3
	s_delay_alu instid0(VALU_DEP_2) | instskip(SKIP_1) | instid1(VALU_DEP_2)
	v_and_b32_e32 v6, s0, v2
	v_add_nc_u64_e32 v[0:1], -1, v[2:3]
	v_cmp_eq_u64_e64 s4, 0, v[6:7]
	v_cmpx_ne_u64_e32 0, v[6:7]
	s_cbranch_execz .LBB1_24
; %bb.21:
	v_and_b32_e32 v5, s0, v0
	v_and_b32_e32 v6, s1, v1
	s_mov_b32 s9, -1
	s_mov_b32 s10, exec_lo
	s_delay_alu instid0(VALU_DEP_2) | instskip(NEXT) | instid1(VALU_DEP_1)
	v_bcnt_u32_b32 v5, v5, 0
	v_bcnt_u32_b32 v6, v6, v5
	v_mov_b32_e32 v5, 0
	s_delay_alu instid0(VALU_DEP_2)
	v_cmpx_eq_u32_e64 s2, v6
; %bb.22:
	s_xor_b32 s9, exec_lo, -1
	ds_store_b32 v5, v4 offset:16560
; %bb.23:
	s_or_b32 exec_lo, exec_lo, s10
	s_delay_alu instid0(SALU_CYCLE_1) | instskip(SKIP_1) | instid1(SALU_CYCLE_1)
	s_and_not1_b32 s4, s4, exec_lo
	s_and_b32 s9, s9, exec_lo
	s_or_b32 s4, s4, s9
.LBB1_24:
	s_or_b32 exec_lo, exec_lo, s5
	s_mov_b32 s5, 0
                                        ; implicit-def: $sgpr10
	s_and_saveexec_b32 s9, s4
	s_cbranch_execz .LBB1_28
; %bb.25:
	s_load_b64 s[4:5], s[36:37], 0x10
	s_mov_b32 s12, 0
	s_mov_b32 s11, exec_lo
                                        ; implicit-def: $sgpr10
	s_wait_kmcnt 0x0
	v_and_b32_e32 v3, s5, v3
	v_and_b32_e32 v2, s4, v2
	s_delay_alu instid0(VALU_DEP_1)
	v_cmpx_ne_u64_e32 0, v[2:3]
	s_xor_b32 s11, exec_lo, s11
	s_cbranch_execz .LBB1_27
; %bb.26:
	v_and_b32_e32 v0, s4, v0
	s_bcnt1_i32_b64 s10, s[0:1]
	v_and_b32_e32 v1, s5, v1
	s_delay_alu instid0(VALU_DEP_2) | instskip(NEXT) | instid1(VALU_DEP_1)
	v_bcnt_u32_b32 v0, v0, 0
	v_bcnt_u32_b32 v0, v1, v0
	s_delay_alu instid0(VALU_DEP_1) | instskip(NEXT) | instid1(VALU_DEP_1)
	v_add_nc_u32_e32 v0, s10, v0
	v_cmp_eq_u32_e32 vcc_lo, s2, v0
	s_and_b32 s12, vcc_lo, exec_lo
.LBB1_27:
	s_or_b32 exec_lo, exec_lo, s11
	s_delay_alu instid0(SALU_CYCLE_1)
	s_and_b32 s5, s12, exec_lo
.LBB1_28:
	s_or_b32 exec_lo, exec_lo, s9
	v_mov_b32_e32 v0, s10
	s_and_not1_b32 s0, s7, exec_lo
	s_and_b32 s1, s5, exec_lo
	s_delay_alu instid0(SALU_CYCLE_1)
	s_or_b32 s7, s0, s1
.LBB1_29:
	s_or_b32 exec_lo, exec_lo, s8
	s_and_saveexec_b32 s0, s7
; %bb.30:
	v_dual_mov_b32 v1, 0 :: v_dual_add_nc_u32 v0, v0, v4
	ds_store_b32 v1, v0 offset:16560
; %bb.31:
	s_or_b32 exec_lo, exec_lo, s0
.LBB1_32:
	s_delay_alu instid0(SALU_CYCLE_1)
	s_or_b32 exec_lo, exec_lo, s6
	v_cmp_eq_u32_e64 s33, 0, v8
	s_wait_dscnt 0x0
	s_barrier_signal -1
	s_barrier_wait -1
	s_and_saveexec_b32 s0, s33
	s_cbranch_execz .LBB1_34
; %bb.33:
	v_mov_b32_e32 v4, 0
	ds_load_b32 v0, v4 offset:16560
	ds_load_b64 v[2:3], v4 offset:16512
	s_wait_dscnt 0x1
	v_ashrrev_i32_e32 v1, 31, v0
	s_delay_alu instid0(VALU_DEP_1) | instskip(SKIP_1) | instid1(VALU_DEP_1)
	v_mul_u64_e32 v[0:1], 0x180, v[0:1]
	s_wait_dscnt 0x0
	v_add_nc_u64_e32 v[0:1], v[2:3], v[0:1]
	flat_load_b64 v[0:1], v[0:1] offset:464
	ds_store_b32 v4, v4 offset:16564
	s_wait_loadcnt_dscnt 0x1
	ds_store_b64 v4, v[0:1] offset:17040
.LBB1_34:
	s_or_b32 exec_lo, exec_lo, s0
	s_wait_kmcnt 0x0
	s_and_b32 s53, 0xffff, s3
	s_mov_b32 s0, exec_lo
	v_cmpx_lt_i32_e32 0, v9
	s_xor_b32 s6, exec_lo, s0
	s_cbranch_execz .LBB1_71
; %bb.35:
	s_mov_b32 s0, exec_lo
	v_cmpx_ne_u32_e32 1, v9
	s_xor_b32 s7, exec_lo, s0
	s_cbranch_execz .LBB1_66
; %bb.36:
	v_subrev_nc_u32_e32 v16, 64, v8
	v_mul_u32_u24_e32 v11, 0x810, v9
	v_mov_b32_e32 v15, 0
	s_sub_co_i32 s8, s53, 64
	s_mov_b32 s9, 0
	v_lshrrev_b16 v0, 11, v16
	s_delay_alu instid0(VALU_DEP_1) | instskip(NEXT) | instid1(VALU_DEP_1)
	v_add_nc_u16 v0, v16, v0
	v_and_b32_e32 v0, 0xffffffe0, v0
	s_delay_alu instid0(VALU_DEP_1) | instskip(NEXT) | instid1(VALU_DEP_1)
	v_sub_nc_u16 v10, v16, v0
	v_and_b32_e32 v0, 0xffff, v10
	v_add_nc_u16 v12, v10, 32
	s_delay_alu instid0(VALU_DEP_2)
	v_lshlrev_b32_e64 v13, v0, 1
	v_bfm_b32 v14, v0, 0
                                        ; implicit-def: $vgpr0_vgpr1_vgpr2_vgpr3
	s_branch .LBB1_39
.LBB1_37:                               ;   in Loop: Header=BB1_39 Depth=1
	s_or_b32 exec_lo, exec_lo, s5
	v_mov_b32_e32 v4, v16
	s_mov_b32 s5, s2
.LBB1_38:                               ;   in Loop: Header=BB1_39 Depth=1
	s_delay_alu instid0(VALU_DEP_1)
	v_mov_b32_e32 v16, v4
	s_and_not1_b32 vcc_lo, exec_lo, s1
	s_mov_b32 s2, s5
	s_cbranch_vccz .LBB1_66
.LBB1_39:                               ; =>This Inner Loop Header: Depth=1
	s_ashr_i32 s3, s2, 31
	s_delay_alu instid0(SALU_CYCLE_1)
	s_lshl_b64 s[0:1], s[2:3], 4
	s_mov_b32 s3, exec_lo
	s_add_nc_u64 s[4:5], s[36:37], s[0:1]
	s_load_b64 s[0:1], s[4:5], 0x38
	s_wait_kmcnt 0x0
	v_and_b32_e32 v4, s0, v13
	s_delay_alu instid0(VALU_DEP_1)
	v_cmpx_ne_u32_e32 0, v4
; %bb.40:                               ;   in Loop: Header=BB1_39 Depth=1
	v_and_b32_e32 v4, s0, v14
	s_delay_alu instid0(VALU_DEP_1)
	v_bcnt_u32_b32 v4, v4, v11
	ds_store_b8 v4, v10
; %bb.41:                               ;   in Loop: Header=BB1_39 Depth=1
	s_or_b32 exec_lo, exec_lo, s3
	s_wait_xcnt 0x0
	s_load_b64 s[4:5], s[4:5], 0x30
	v_and_b32_e32 v4, s1, v13
	s_bcnt1_i32_b32 s0, s0
	s_mov_b32 s3, exec_lo
	s_delay_alu instid0(VALU_DEP_1)
	v_cmpx_ne_u32_e32 0, v4
	s_cbranch_execz .LBB1_43
; %bb.42:                               ;   in Loop: Header=BB1_39 Depth=1
	v_and_b32_e32 v4, s1, v14
	s_delay_alu instid0(VALU_DEP_1) | instskip(NEXT) | instid1(VALU_DEP_1)
	v_bcnt_u32_b32 v4, v4, 0
	v_add3_u32 v4, v11, s0, v4
	ds_store_b8 v4, v12
.LBB1_43:                               ;   in Loop: Header=BB1_39 Depth=1
	s_or_b32 exec_lo, exec_lo, s3
	s_bcnt1_i32_b32 s10, s1
	s_wait_kmcnt 0x0
	s_bfe_u32 s3, s4, 0x2000f
	s_add_co_i32 s10, s10, s0
	s_cmp_lt_i32 s3, 1
	s_mov_b32 s0, -1
                                        ; implicit-def: $vgpr17
                                        ; implicit-def: $vgpr18
                                        ; implicit-def: $vgpr4
                                        ; implicit-def: $vgpr19
	s_cbranch_scc1 .LBB1_51
; %bb.44:                               ;   in Loop: Header=BB1_39 Depth=1
	s_cmp_lg_u32 s3, 1
                                        ; implicit-def: $vgpr17
                                        ; implicit-def: $vgpr18
                                        ; implicit-def: $vgpr4
	s_cbranch_scc0 .LBB1_46
; %bb.45:                               ;   in Loop: Header=BB1_39 Depth=1
	v_mul_hi_i32 v4, 0x66666667, v16
	s_mov_b32 s0, 0
	s_delay_alu instid0(VALU_DEP_1) | instskip(NEXT) | instid1(VALU_DEP_1)
	v_dual_lshrrev_b32 v5, 31, v4 :: v_dual_ashrrev_i32 v4, 3, v4
	v_add_nc_u32_e32 v17, v4, v5
	v_mul_u32_u24_e64 v4, s10, 20
	s_delay_alu instid0(VALU_DEP_2) | instskip(NEXT) | instid1(VALU_DEP_1)
	v_mul_lo_u32 v5, v17, 20
	v_sub_nc_u32_e32 v18, v16, v5
.LBB1_46:                               ;   in Loop: Header=BB1_39 Depth=1
	s_and_not1_b32 vcc_lo, exec_lo, s0
	s_movk_i32 s0, 0x140
	s_cbranch_vccnz .LBB1_48
; %bb.47:                               ;   in Loop: Header=BB1_39 Depth=1
	v_ashrrev_i32_e32 v4, 31, v16
	s_lshl_b32 s0, s10, 3
	s_delay_alu instid0(VALU_DEP_1) | instskip(NEXT) | instid1(VALU_DEP_1)
	v_lshrrev_b32_e32 v4, 29, v4
	v_add_nc_u32_e32 v4, v16, v4
	s_delay_alu instid0(VALU_DEP_1) | instskip(SKIP_2) | instid1(VALU_DEP_2)
	v_dual_ashrrev_i32 v17, 3, v4 :: v_dual_bitop2_b32 v5, -8, v4 bitop3:0x40
	v_mov_b32_e32 v4, s0
	s_movk_i32 s0, 0x80
	v_sub_nc_u32_e32 v18, v16, v5
.LBB1_48:                               ;   in Loop: Header=BB1_39 Depth=1
	v_mov_b32_e32 v19, s0
	s_cbranch_execz .LBB1_52
.LBB1_49:                               ;   in Loop: Header=BB1_39 Depth=1
	v_cmp_eq_u32_e64 s0, 0, v16
	s_and_saveexec_b32 s1, s0
	s_cbranch_execz .LBB1_53
.LBB1_50:                               ;   in Loop: Header=BB1_39 Depth=1
	ds_store_b32 v15, v19 offset:17072
	s_or_b32 exec_lo, exec_lo, s1
	s_delay_alu instid0(SALU_CYCLE_1)
	s_mov_b32 s11, exec_lo
	v_cmpx_lt_i32_e64 v16, v4
	s_cbranch_execz .LBB1_61
	s_branch .LBB1_54
.LBB1_51:                               ;   in Loop: Header=BB1_39 Depth=1
	s_and_not1_b32 vcc_lo, exec_lo, s0
	s_cbranch_vccnz .LBB1_49
.LBB1_52:                               ;   in Loop: Header=BB1_39 Depth=1
	v_dual_mov_b32 v19, 64 :: v_dual_ashrrev_i32 v4, 31, v16
	s_lshl_b32 s0, s10, 2
	s_delay_alu instid0(VALU_DEP_1) | instskip(NEXT) | instid1(VALU_DEP_1)
	v_lshrrev_b32_e32 v4, 30, v4
	v_add_nc_u32_e32 v4, v16, v4
	s_delay_alu instid0(VALU_DEP_1) | instskip(NEXT) | instid1(VALU_DEP_1)
	v_dual_ashrrev_i32 v17, 2, v4 :: v_dual_bitop2_b32 v5, -4, v4 bitop3:0x40
	v_dual_mov_b32 v4, s0 :: v_dual_sub_nc_u32 v18, v16, v5
	v_cmp_eq_u32_e64 s0, 0, v16
	s_and_saveexec_b32 s1, s0
	s_cbranch_execnz .LBB1_50
.LBB1_53:                               ;   in Loop: Header=BB1_39 Depth=1
	s_or_b32 exec_lo, exec_lo, s1
	s_delay_alu instid0(SALU_CYCLE_1)
	s_mov_b32 s11, exec_lo
	v_cmpx_lt_i32_e64 v16, v4
	s_cbranch_execz .LBB1_61
.LBB1_54:                               ;   in Loop: Header=BB1_39 Depth=1
	ds_load_u8 v4, v15 offset:16536
	v_add_nc_u32_e32 v5, v11, v17
	ds_load_u8 v21, v5
	s_wait_dscnt 0x1
	v_cmp_ne_u32_e64 s1, 0, v4
	s_and_b32 vcc_lo, exec_lo, s1
	s_cbranch_vccz .LBB1_57
; %bb.55:                               ;   in Loop: Header=BB1_39 Depth=1
	s_and_b32 vcc_lo, exec_lo, s1
	s_mov_b32 s1, -1
                                        ; implicit-def: $vgpr4_vgpr5_vgpr6_vgpr7
                                        ; implicit-def: $vgpr20
	s_cbranch_vccz .LBB1_58
.LBB1_56:                               ;   in Loop: Header=BB1_39 Depth=1
	ds_load_b32 v6, v15 offset:16540
	ds_load_b64 v[4:5], v15 offset:16544
	s_wait_dscnt 0x2
	v_mul_u32_u24_e32 v7, v19, v21
	v_lshlrev_b32_e32 v20, 4, v18
	s_delay_alu instid0(VALU_DEP_1) | instskip(SKIP_1) | instid1(VALU_DEP_1)
	v_add3_u32 v7, v20, s5, v7
	s_wait_dscnt 0x1
	v_and_b32_e32 v6, v6, v7
	s_wait_dscnt 0x0
	v_readfirstlane_b32 s12, v4
	v_readfirstlane_b32 s13, v5
	flat_load_b128 v[4:7], v6, s[12:13]
	s_cbranch_execz .LBB1_59
	s_branch .LBB1_60
.LBB1_57:                               ;   in Loop: Header=BB1_39 Depth=1
	s_wait_dscnt 0x0
	v_mul_u32_u24_e32 v0, v19, v21
	v_lshlrev_b32_e32 v1, 4, v18
	s_delay_alu instid0(VALU_DEP_1)
	v_add3_u32 v0, v1, s5, v0
	global_load_b128 v[0:3], v0, s[36:37]
	s_and_b32 vcc_lo, exec_lo, s1
	s_mov_b32 s1, -1
                                        ; implicit-def: $vgpr4_vgpr5_vgpr6_vgpr7
                                        ; implicit-def: $vgpr20
	s_cbranch_vccnz .LBB1_56
.LBB1_58:                               ;   in Loop: Header=BB1_39 Depth=1
	s_and_not1_b32 vcc_lo, exec_lo, s1
	s_cbranch_vccnz .LBB1_60
.LBB1_59:                               ;   in Loop: Header=BB1_39 Depth=1
	s_wait_loadcnt_dscnt 0x0
	s_wait_xcnt 0x0
	v_mov_b64_e32 v[6:7], v[2:3]
	v_mov_b64_e32 v[4:5], v[0:1]
	v_lshlrev_b32_e32 v20, 4, v18
.LBB1_60:                               ;   in Loop: Header=BB1_39 Depth=1
	s_wait_loadcnt 0x0
	s_wait_xcnt 0x0
	v_add_nc_u32_e32 v0, s9, v17
	s_delay_alu instid0(VALU_DEP_1)
	v_mad_u32 v17, v0, v19, v20
	s_wait_dscnt 0x0
	v_mov_b64_e32 v[0:1], v[4:5]
	v_mov_b64_e32 v[2:3], v[6:7]
	ds_store_b128 v17, v[4:7] offset:20176
.LBB1_61:                               ;   in Loop: Header=BB1_39 Depth=1
	s_or_b32 exec_lo, exec_lo, s11
	s_bitcmp0_b32 s4, 14
	s_wait_xcnt 0x0
	v_readfirstlane_b32 s5, v0
	s_cselect_b32 s1, -1, 0
	s_mov_b32 s11, -1
	s_and_b32 vcc_lo, exec_lo, s1
                                        ; implicit-def: $vgpr4
	s_cbranch_vccnz .LBB1_63
; %bb.62:                               ;   in Loop: Header=BB1_39 Depth=1
	v_cmp_gt_i32_e32 vcc_lo, 64, v16
	s_and_b32 s5, s4, 0x3fff
	s_delay_alu instid0(SALU_CYCLE_1) | instskip(SKIP_1) | instid1(VALU_DEP_1)
	s_add_co_i32 s5, s5, s2
	v_cndmask_b32_e64 v4, 0, s8, vcc_lo
	v_add3_u32 v4, v16, v4, 0xffffffc0
	s_add_co_i32 s9, s10, s9
	s_cbranch_execnz .LBB1_38
	s_branch .LBB1_64
.LBB1_63:                               ;   in Loop: Header=BB1_39 Depth=1
	s_and_not1_b32 vcc_lo, exec_lo, s11
	s_add_co_i32 s9, s10, s9
	s_cbranch_vccnz .LBB1_38
.LBB1_64:                               ;   in Loop: Header=BB1_39 Depth=1
	s_and_saveexec_b32 s5, s0
	s_cbranch_execz .LBB1_37
; %bb.65:                               ;   in Loop: Header=BB1_39 Depth=1
	s_and_b32 s0, s4, 0x3fff
	v_dual_mov_b32 v4, s2 :: v_dual_mov_b32 v6, s3
	s_add_co_i32 s10, s0, s2
	s_cmp_lg_u32 s0, 0
	v_mov_b32_e32 v7, s9
	s_cselect_b32 s0, s10, -1
	s_delay_alu instid0(SALU_CYCLE_1) | instskip(SKIP_1) | instid1(SALU_CYCLE_1)
	v_dual_mov_b32 v16, 0 :: v_dual_mov_b32 v5, s0
	s_lshr_b32 s0, s4, 17
	v_mov_b32_e32 v17, s0
	ds_store_b64 v15, v[4:5] offset:17056
	ds_store_b8 v15, v6 offset:17064
	ds_store_b32 v15, v7 offset:17068
	ds_store_b16 v15, v17 offset:17066
	s_branch .LBB1_37
.LBB1_66:
	s_and_not1_saveexec_b32 s0, s7
	s_cbranch_execz .LBB1_70
; %bb.67:
	s_mov_b32 s1, exec_lo
	v_cmpx_gt_u32_e32 56, v8
	s_cbranch_execz .LBB1_69
; %bb.68:
	v_dual_mov_b32 v2, 0 :: v_dual_lshlrev_b32 v4, 4, v8
	ds_load_b32 v0, v2 offset:16560
	s_wait_dscnt 0x0
	v_ashrrev_i32_e32 v1, 31, v0
	ds_load_b64 v[2:3], v2 offset:16512
	v_mul_u64_e32 v[0:1], 0x180, v[0:1]
	s_wait_dscnt 0x0
	s_delay_alu instid0(VALU_DEP_1) | instskip(NEXT) | instid1(VALU_DEP_1)
	v_add_nc_u64_e32 v[0:1], v[2:3], v[0:1]
	v_readfirstlane_b32 s2, v0
	s_delay_alu instid0(VALU_DEP_2)
	v_readfirstlane_b32 s3, v1
	flat_load_b128 v[0:3], v8, s[2:3] offset:-416 scale_offset
	s_wait_loadcnt_dscnt 0x0
	ds_store_b128 v4, v[0:3] offset:16160
.LBB1_69:
	s_or_b32 exec_lo, exec_lo, s1
.LBB1_70:
	s_delay_alu instid0(SALU_CYCLE_1)
	s_or_b32 exec_lo, exec_lo, s0
.LBB1_71:
	s_and_not1_saveexec_b32 s0, s6
	s_cbranch_execz .LBB1_75
; %bb.72:
	s_mov_b32 s1, exec_lo
	v_cmpx_gt_u32_e32 6, v8
	s_cbranch_execz .LBB1_74
; %bb.73:
	v_dual_mov_b32 v0, 0 :: v_dual_lshlrev_b32 v4, 4, v8
	ds_load_b64 v[0:1], v0 offset:16512
	s_wait_dscnt 0x0
	v_readfirstlane_b32 s2, v0
	v_readfirstlane_b32 s3, v1
	flat_load_b128 v[0:3], v8, s[2:3] scale_offset
	s_wait_loadcnt_dscnt 0x0
	ds_store_b128 v4, v[0:3] offset:16576
.LBB1_74:
	s_or_b32 exec_lo, exec_lo, s1
.LBB1_75:
	s_delay_alu instid0(SALU_CYCLE_1)
	s_or_b32 exec_lo, exec_lo, s0
	v_mov_b32_e32 v41, 0
	s_wait_dscnt 0x0
	s_barrier_signal -1
	s_barrier_wait -1
	ds_load_b32 v0, v41 offset:16564
	s_wait_dscnt 0x0
	v_cmp_ne_u32_e32 vcc_lo, 0, v0
	s_cbranch_vccz .LBB1_88
.LBB1_76:
	s_and_saveexec_b32 s0, s33
	s_cbranch_execz .LBB1_87
; %bb.77:
	v_mov_b32_e32 v8, 0
	ds_load_b32 v2, v8 offset:17068
	ds_load_b64 v[4:5], v8 offset:17040
	s_wait_dscnt 0x1
	v_ashrrev_i32_e32 v3, 31, v2
	s_wait_dscnt 0x0
	v_add_nc_u64_e32 v[0:1], 1, v[4:5]
	s_delay_alu instid0(VALU_DEP_2) | instskip(NEXT) | instid1(VALU_DEP_1)
	v_add_nc_u64_e32 v[6:7], v[4:5], v[2:3]
	v_cmp_gt_u64_e32 vcc_lo, v[0:1], v[6:7]
	s_cbranch_vccnz .LBB1_86
; %bb.78:
	ds_load_u8 v9, v8 offset:17064
	s_movk_i32 s0, 0x4f0e
	s_movk_i32 s1, 0x4eda
	s_branch .LBB1_80
.LBB1_79:                               ;   in Loop: Header=BB1_80 Depth=1
	s_wait_dscnt 0x0
	v_ashrrev_i32_e32 v3, 31, v2
	v_add_nc_u64_e32 v[0:1], 1, v[0:1]
	s_add_co_i32 s0, s0, 64
	s_addk_co_i32 s1, 0x80
	s_delay_alu instid0(VALU_DEP_2) | instskip(NEXT) | instid1(VALU_DEP_1)
	v_add_nc_u64_e32 v[6:7], v[4:5], v[2:3]
	v_cmp_le_u64_e32 vcc_lo, v[0:1], v[6:7]
	s_cbranch_vccz .LBB1_86
.LBB1_80:                               ; =>This Inner Loop Header: Depth=1
	s_wait_dscnt 0x0
	v_and_b32_e32 v3, 0xff, v9
	s_delay_alu instid0(VALU_DEP_1)
	v_cmp_ne_u32_e32 vcc_lo, 0, v3
	s_cbranch_vccz .LBB1_85
; %bb.81:                               ;   in Loop: Header=BB1_80 Depth=1
	v_mov_b32_e32 v3, s1
	ds_load_u8 v3, v3
	s_wait_dscnt 0x0
	v_and_b32_e32 v3, 1, v3
	s_cbranch_execnz .LBB1_83
.LBB1_82:                               ;   in Loop: Header=BB1_80 Depth=1
	v_mov_b32_e32 v3, s0
	ds_load_u16 v3, v3
	s_wait_dscnt 0x0
	v_bfe_u32 v3, v3, 6, 1
.LBB1_83:                               ;   in Loop: Header=BB1_80 Depth=1
	s_delay_alu instid0(VALU_DEP_1)
	v_cmp_eq_u32_e32 vcc_lo, 0, v3
	s_cbranch_vccnz .LBB1_79
; %bb.84:                               ;   in Loop: Header=BB1_80 Depth=1
	s_sendmsg_rtn_b64 s[2:3], sendmsg(MSG_RTN_GET_REALTIME)
	ds_load_u8 v9, v8 offset:17064
	ds_load_b32 v2, v8 offset:16560
	ds_load_b64 v[4:5], v8 offset:16664
	s_wait_dscnt 0x1
	v_dual_ashrrev_i32 v3, 31, v2 :: v_dual_bitop2_b32 v6, 63, v0 bitop3:0x40
	s_delay_alu instid0(VALU_DEP_1) | instskip(SKIP_1) | instid1(VALU_DEP_1)
	v_lshlrev_b64_e32 v[2:3], 10, v[2:3]
	s_wait_dscnt 0x0
	v_add_nc_u64_e32 v[4:5], v[4:5], v[2:3]
	s_wait_kmcnt 0x0
	v_dual_mov_b32 v2, s2 :: v_dual_mov_b32 v3, s3
	s_delay_alu instid0(VALU_DEP_2) | instskip(NEXT) | instid1(VALU_DEP_3)
	v_readfirstlane_b32 s2, v4
	v_readfirstlane_b32 s3, v5
	flat_store_b128 v6, v[0:3], s[2:3] scale_offset
	ds_load_b64 v[4:5], v8 offset:17040
	s_wait_xcnt 0x0
	ds_load_b32 v2, v8 offset:17068
	s_branch .LBB1_79
.LBB1_85:                               ;   in Loop: Header=BB1_80 Depth=1
                                        ; implicit-def: $vgpr3
	s_branch .LBB1_82
.LBB1_86:
	v_mov_b32_e32 v4, 0
	ds_load_b32 v0, v4 offset:16560
	ds_load_b64 v[2:3], v4 offset:16512
	s_wait_dscnt 0x1
	v_ashrrev_i32_e32 v1, 31, v0
	ds_store_b64 v4, v[6:7] offset:17040
	v_mul_u64_e32 v[0:1], 0x180, v[0:1]
	s_wait_dscnt 0x1
	s_delay_alu instid0(VALU_DEP_1)
	v_add_nc_u64_e32 v[0:1], v[2:3], v[0:1]
	flat_store_b64 v[0:1], v[6:7] offset:464
.LBB1_87:
	s_endpgm
.LBB1_88:
	s_get_pc_i64 s[2:3]
	s_add_nc_u64 s[2:3], s[2:3], _Z50ncclDevFunc_AlltoAllPivot_RING_SIMPLE_Sum_i8_0_0_2v@rel64+4
                                        ; implicit-def: $vgpr58 : SGPR spill to VGPR lane
	v_and_b32_e32 v44, 31, v8
	v_writelane_b32 v58, s2, 0
	s_movk_i32 s1, 0x160
	v_cmp_eq_u32_e64 s52, 32, v8
	v_mad_u32_u24 v45, v8, s1, 0x17d8
	v_mul_u32_u24_e32 v46, 0x810, v9
	v_writelane_b32 v58, s3, 1
	s_get_pc_i64 s[2:3]
	s_add_nc_u64 s[2:3], s[2:3], _Z45ncclDevFunc_SendRecv_RING_SIMPLE_Sum_i8_0_0_2v@rel64+4
	v_lshlrev_b32_e64 v47, v8, 1
	v_bfm_b32 v56, v44, 0
	v_or_b32_e32 v57, 32, v44
	v_writelane_b32 v58, s2, 2
	v_cmp_eq_u32_e32 vcc_lo, 1, v9
	v_cmp_gt_u32_e64 s0, 40, v8
	s_get_pc_i64 s[64:65]
	s_add_nc_u64 s[64:65], s[64:65], _Z52ncclDevFunc_AllReduce_RING_SIMPLE_PreMulSum_u8_0_0_2v@rel64+4
	s_get_pc_i64 s[66:67]
	s_add_nc_u64 s[66:67], s[66:67], _Z53ncclDevFunc_AllReduce_RING_SIMPLE_MinMax_f8e5m2_0_0_2v@rel64+4
	v_writelane_b32 v58, s3, 3
	s_get_pc_i64 s[2:3]
	s_add_nc_u64 s[2:3], s[2:3], _Z54ncclDevFunc_AllReduce_RING_SIMPLE_SumPostDiv_u64_0_0_2v@rel64+4
	s_get_pc_i64 s[68:69]
	s_add_nc_u64 s[68:69], s[68:69], _Z53ncclDevFunc_AllReduce_RING_SIMPLE_MinMax_f8e4m3_0_0_2v@rel64+4
	v_writelane_b32 v58, s2, 4
	v_writelane_b32 v58, s3, 5
	s_get_pc_i64 s[2:3]
	s_add_nc_u64 s[2:3], s[2:3], _Z54ncclDevFunc_AllReduce_RING_SIMPLE_SumPostDiv_u32_0_0_2v@rel64+4
	s_delay_alu instid0(SALU_CYCLE_1) | instskip(SKIP_3) | instid1(SALU_CYCLE_1)
	v_writelane_b32 v58, s2, 6
	v_writelane_b32 v58, s3, 7
	s_get_pc_i64 s[2:3]
	s_add_nc_u64 s[2:3], s[2:3], _Z53ncclDevFunc_AllReduce_RING_SIMPLE_SumPostDiv_u8_0_0_2v@rel64+4
	v_writelane_b32 v58, s2, 8
	v_writelane_b32 v58, s3, 9
	s_get_pc_i64 s[2:3]
	s_add_nc_u64 s[2:3], s[2:3], _Z56ncclDevFunc_AllReduce_RING_SIMPLE_PreMulSum_f8e5m2_0_0_2v@rel64+4
	s_delay_alu instid0(SALU_CYCLE_1) | instskip(SKIP_3) | instid1(SALU_CYCLE_1)
	v_writelane_b32 v58, s2, 10
	v_writelane_b32 v58, s3, 11
	s_get_pc_i64 s[2:3]
	s_add_nc_u64 s[2:3], s[2:3], _Z56ncclDevFunc_AllReduce_RING_SIMPLE_PreMulSum_f8e4m3_0_0_2v@rel64+4
	v_writelane_b32 v58, s2, 12
	v_writelane_b32 v58, s3, 13
	s_get_pc_i64 s[2:3]
	s_add_nc_u64 s[2:3], s[2:3], _Z54ncclDevFunc_AllReduce_RING_SIMPLE_PreMulSum_bf16_0_1_2v@rel64+4
	s_delay_alu instid0(SALU_CYCLE_1) | instskip(SKIP_3) | instid1(SALU_CYCLE_1)
	v_writelane_b32 v58, s2, 14
	v_writelane_b32 v58, s3, 15
	s_get_pc_i64 s[2:3]
	s_add_nc_u64 s[2:3], s[2:3], _Z54ncclDevFunc_AllReduce_RING_SIMPLE_PreMulSum_bf16_0_0_2v@rel64+4
	v_writelane_b32 v58, s2, 16
	v_writelane_b32 v58, s3, 17
	s_get_pc_i64 s[2:3]
	s_add_nc_u64 s[2:3], s[2:3], _Z53ncclDevFunc_AllReduce_RING_SIMPLE_PreMulSum_f64_0_0_2v@rel64+4
	s_delay_alu instid0(SALU_CYCLE_1) | instskip(SKIP_3) | instid1(SALU_CYCLE_1)
	v_writelane_b32 v58, s2, 18
	v_writelane_b32 v58, s3, 19
	s_get_pc_i64 s[2:3]
	s_add_nc_u64 s[2:3], s[2:3], _Z53ncclDevFunc_AllReduce_RING_SIMPLE_PreMulSum_f32_0_0_2v@rel64+4
	v_writelane_b32 v58, s2, 20
	v_writelane_b32 v58, s3, 21
	s_get_pc_i64 s[2:3]
	s_add_nc_u64 s[2:3], s[2:3], _Z53ncclDevFunc_AllReduce_RING_SIMPLE_PreMulSum_f16_0_0_2v@rel64+4
	s_delay_alu instid0(SALU_CYCLE_1) | instskip(SKIP_3) | instid1(SALU_CYCLE_1)
	v_writelane_b32 v58, s2, 22
	v_writelane_b32 v58, s3, 23
	s_get_pc_i64 s[2:3]
	s_add_nc_u64 s[2:3], s[2:3], _Z53ncclDevFunc_AllReduce_RING_SIMPLE_PreMulSum_u64_0_0_2v@rel64+4
	v_writelane_b32 v58, s2, 24
	v_writelane_b32 v58, s3, 25
	s_get_pc_i64 s[2:3]
	s_add_nc_u64 s[2:3], s[2:3], _Z53ncclDevFunc_AllReduce_RING_SIMPLE_PreMulSum_u32_0_0_2v@rel64+4
	s_delay_alu instid0(SALU_CYCLE_1) | instskip(SKIP_3) | instid1(SALU_CYCLE_1)
	v_writelane_b32 v58, s2, 26
	v_writelane_b32 v58, s3, 27
	s_get_pc_i64 s[2:3]
	s_add_nc_u64 s[2:3], s[2:3], _Z51ncclDevFunc_AllReduce_RING_SIMPLE_MinMax_bf16_0_0_2v@rel64+4
	v_writelane_b32 v58, s2, 28
	v_writelane_b32 v58, s3, 29
	s_get_pc_i64 s[2:3]
	s_add_nc_u64 s[2:3], s[2:3], _Z51ncclDevFunc_AllReduce_RING_SIMPLE_MinMax_bf16_0_1_2v@rel64+4
	s_delay_alu instid0(SALU_CYCLE_1)
	v_writelane_b32 v58, s2, 30
	v_writelane_b32 v58, s3, 31
	s_or_saveexec_b32 s105, -1
	scratch_store_b32 off, v58, off         ; 4-byte Folded Spill
	s_wait_xcnt 0x0
	s_mov_b32 exec_lo, s105
	s_get_pc_i64 s[2:3]
	s_add_nc_u64 s[2:3], s[2:3], _Z50ncclDevFunc_AllReduce_RING_SIMPLE_MinMax_f64_0_0_2v@rel64+4
                                        ; implicit-def: $vgpr58 : SGPR spill to VGPR lane
	v_mov_b64_e32 v[42:43], 0
	v_writelane_b32 v58, s2, 0
	s_get_pc_i64 s[102:103]
	s_add_nc_u64 s[102:103], s[102:103], _Z50ncclDevFunc_AllReduce_RING_SIMPLE_MinMax_f16_0_0_2v@rel64+4
	s_get_pc_i64 s[54:55]
	s_add_nc_u64 s[54:55], s[54:55], _Z50ncclDevFunc_AllReduce_RING_SIMPLE_MinMax_u64_0_0_2v@rel64+4
	s_get_pc_i64 s[86:87]
	s_add_nc_u64 s[86:87], s[86:87], _Z51ncclDevFunc_AllReduce_RING_SIMPLE_Prod_f8e5m2_0_0_2v@rel64+4
	s_get_pc_i64 s[96:97]
	s_add_nc_u64 s[96:97], s[96:97], _Z51ncclDevFunc_AllReduce_RING_SIMPLE_Prod_f8e4m3_0_0_2v@rel64+4
	v_writelane_b32 v58, s3, 1
	s_get_pc_i64 s[2:3]
	s_add_nc_u64 s[2:3], s[2:3], _Z50ncclDevFunc_AllReduce_RING_SIMPLE_MinMax_f32_0_0_2v@rel64+4
	s_get_pc_i64 s[80:81]
	s_add_nc_u64 s[80:81], s[80:81], _Z48ncclDevFunc_AllReduce_RING_SIMPLE_Prod_f16_0_0_2v@rel64+4
	s_get_pc_i64 s[82:83]
	s_add_nc_u64 s[82:83], s[82:83], _Z47ncclDevFunc_AllReduce_RING_SIMPLE_Prod_u8_0_0_2v@rel64+4
	s_get_pc_i64 s[70:71]
	s_add_nc_u64 s[70:71], s[70:71], _Z50ncclDevFunc_AllReduce_RING_SIMPLE_Sum_f8e5m2_0_0_2v@rel64+4
	v_writelane_b32 v58, s2, 2
	s_get_pc_i64 s[84:85]
	s_add_nc_u64 s[84:85], s[84:85], _Z50ncclDevFunc_AllReduce_RING_SIMPLE_Sum_f8e4m3_0_0_2v@rel64+4
	s_get_pc_i64 s[98:99]
	s_add_nc_u64 s[98:99], s[98:99], _Z47ncclDevFunc_AllReduce_RING_SIMPLE_Sum_f64_0_0_2v@rel64+4
	v_writelane_b32 v58, s3, 3
	s_get_pc_i64 s[2:3]
	s_add_nc_u64 s[2:3], s[2:3], _Z50ncclDevFunc_AllReduce_RING_SIMPLE_MinMax_u32_0_0_2v@rel64+4
	s_delay_alu instid0(SALU_CYCLE_1) | instskip(SKIP_3) | instid1(SALU_CYCLE_1)
	v_writelane_b32 v58, s2, 4
	v_writelane_b32 v58, s3, 5
	s_get_pc_i64 s[2:3]
	s_add_nc_u64 s[2:3], s[2:3], _Z49ncclDevFunc_AllReduce_RING_SIMPLE_MinMax_u8_0_0_2v@rel64+4
	v_writelane_b32 v58, s2, 6
	v_writelane_b32 v58, s3, 7
	s_get_pc_i64 s[2:3]
	s_add_nc_u64 s[2:3], s[2:3], _Z49ncclDevFunc_AllReduce_RING_SIMPLE_Prod_bf16_0_0_2v@rel64+4
	s_delay_alu instid0(SALU_CYCLE_1) | instskip(SKIP_3) | instid1(SALU_CYCLE_1)
	v_writelane_b32 v58, s2, 8
	v_writelane_b32 v58, s3, 9
	s_get_pc_i64 s[2:3]
	s_add_nc_u64 s[2:3], s[2:3], _Z49ncclDevFunc_AllReduce_RING_SIMPLE_Prod_bf16_0_1_2v@rel64+4
	v_writelane_b32 v58, s2, 10
	v_writelane_b32 v58, s3, 11
	s_get_pc_i64 s[2:3]
	s_add_nc_u64 s[2:3], s[2:3], _Z48ncclDevFunc_AllReduce_RING_SIMPLE_Prod_f64_0_0_2v@rel64+4
	s_delay_alu instid0(SALU_CYCLE_1) | instskip(SKIP_3) | instid1(SALU_CYCLE_1)
	v_writelane_b32 v58, s2, 12
	v_writelane_b32 v58, s3, 13
	s_get_pc_i64 s[2:3]
	s_add_nc_u64 s[2:3], s[2:3], _Z48ncclDevFunc_AllReduce_RING_SIMPLE_Prod_f32_0_0_2v@rel64+4
	v_writelane_b32 v58, s2, 14
	v_writelane_b32 v58, s3, 15
	s_get_pc_i64 s[2:3]
	s_add_nc_u64 s[2:3], s[2:3], _Z48ncclDevFunc_AllReduce_RING_SIMPLE_Prod_u64_0_0_2v@rel64+4
	s_delay_alu instid0(SALU_CYCLE_1) | instskip(SKIP_3) | instid1(SALU_CYCLE_1)
	v_writelane_b32 v58, s2, 16
	v_writelane_b32 v58, s3, 17
	s_get_pc_i64 s[2:3]
	s_add_nc_u64 s[2:3], s[2:3], _Z48ncclDevFunc_AllReduce_RING_SIMPLE_Prod_u32_0_0_2v@rel64+4
	v_writelane_b32 v58, s2, 18
	v_writelane_b32 v58, s3, 19
	s_get_pc_i64 s[2:3]
	s_add_nc_u64 s[2:3], s[2:3], _Z48ncclDevFunc_AllReduce_RING_SIMPLE_Sum_bf16_0_0_2v@rel64+4
	s_delay_alu instid0(SALU_CYCLE_1) | instskip(SKIP_3) | instid1(SALU_CYCLE_1)
	v_writelane_b32 v58, s2, 20
	v_writelane_b32 v58, s3, 21
	s_get_pc_i64 s[2:3]
	s_add_nc_u64 s[2:3], s[2:3], _Z48ncclDevFunc_AllReduce_RING_SIMPLE_Sum_bf16_0_1_2v@rel64+4
	v_writelane_b32 v58, s2, 22
	v_writelane_b32 v58, s3, 23
	s_get_pc_i64 s[2:3]
	s_add_nc_u64 s[2:3], s[2:3], _Z47ncclDevFunc_AllReduce_RING_SIMPLE_Sum_f32_0_0_2v@rel64+4
	s_delay_alu instid0(SALU_CYCLE_1)
	v_writelane_b32 v58, s2, 24
	v_writelane_b32 v58, s3, 25
	s_or_saveexec_b32 s105, -1
	scratch_store_b32 off, v58, off offset:4 ; 4-byte Folded Spill
	s_wait_xcnt 0x0
	s_mov_b32 exec_lo, s105
	s_and_b32 s104, vcc_lo, s0
	s_add_nc_u64 s[50:51], s[36:37], 0x1000
	s_branch .LBB1_90
.LBB1_89:                               ;   in Loop: Header=BB1_90 Depth=1
	s_wait_storecnt_dscnt 0x0
	s_barrier_signal -1
	s_barrier_wait -1
	ds_load_b32 v0, v41 offset:16564
	s_wait_dscnt 0x0
	v_cmp_ne_u32_e64 s0, 0, v0
	s_and_b32 vcc_lo, exec_lo, s0
	s_cbranch_vccnz .LBB1_76
.LBB1_90:                               ; =>This Loop Header: Depth=1
                                        ;     Child Loop BB1_94 Depth 2
                                        ;     Child Loop BB1_585 Depth 2
	;; [unrolled: 1-line block ×3, first 2 shown]
	s_and_saveexec_b32 s0, s33
	s_cbranch_execz .LBB1_100
; %bb.91:                               ;   in Loop: Header=BB1_90 Depth=1
	ds_load_b32 v2, v41 offset:17068
	ds_load_b64 v[4:5], v41 offset:17040
	s_wait_dscnt 0x1
	v_ashrrev_i32_e32 v3, 31, v2
	s_wait_dscnt 0x0
	v_add_nc_u64_e32 v[0:1], 1, v[4:5]
	s_delay_alu instid0(VALU_DEP_2) | instskip(NEXT) | instid1(VALU_DEP_1)
	v_add_nc_u64_e32 v[6:7], v[4:5], v[2:3]
	v_cmp_gt_u64_e32 vcc_lo, v[0:1], v[6:7]
	s_cbranch_vccnz .LBB1_100
; %bb.92:                               ;   in Loop: Header=BB1_90 Depth=1
	ds_load_u8 v6, v41 offset:17064
	s_movk_i32 s1, 0x4f0e
	s_movk_i32 s2, 0x4eda
	s_branch .LBB1_94
.LBB1_93:                               ;   in Loop: Header=BB1_94 Depth=2
	s_wait_dscnt 0x0
	v_ashrrev_i32_e32 v3, 31, v2
	v_add_nc_u64_e32 v[0:1], 1, v[0:1]
	s_add_co_i32 s1, s1, 64
	s_addk_co_i32 s2, 0x80
	s_delay_alu instid0(VALU_DEP_2) | instskip(NEXT) | instid1(VALU_DEP_1)
	v_add_nc_u64_e32 v[8:9], v[4:5], v[2:3]
	v_cmp_le_u64_e32 vcc_lo, v[0:1], v[8:9]
	s_cbranch_vccz .LBB1_100
.LBB1_94:                               ;   Parent Loop BB1_90 Depth=1
                                        ; =>  This Inner Loop Header: Depth=2
	s_wait_dscnt 0x0
	v_and_b32_e32 v3, 0xff, v6
	s_delay_alu instid0(VALU_DEP_1)
	v_cmp_ne_u32_e32 vcc_lo, 0, v3
	s_cbranch_vccz .LBB1_99
; %bb.95:                               ;   in Loop: Header=BB1_94 Depth=2
	v_mov_b32_e32 v3, s2
	ds_load_u8 v3, v3
	s_wait_dscnt 0x0
	v_and_b32_e32 v3, 1, v3
	s_cbranch_execnz .LBB1_97
.LBB1_96:                               ;   in Loop: Header=BB1_94 Depth=2
	v_mov_b32_e32 v3, s1
	ds_load_u16 v3, v3
	s_wait_dscnt 0x0
	v_bfe_u32 v3, v3, 6, 1
.LBB1_97:                               ;   in Loop: Header=BB1_94 Depth=2
	s_delay_alu instid0(VALU_DEP_1)
	v_cmp_eq_u32_e32 vcc_lo, 0, v3
	s_cbranch_vccnz .LBB1_93
; %bb.98:                               ;   in Loop: Header=BB1_94 Depth=2
	s_sendmsg_rtn_b64 s[4:5], sendmsg(MSG_RTN_GET_REALTIME)
	ds_load_u8 v6, v41 offset:17064
	ds_load_b32 v2, v41 offset:16560
	ds_load_b64 v[4:5], v41 offset:16656
	s_wait_dscnt 0x1
	v_dual_ashrrev_i32 v3, 31, v2 :: v_dual_bitop2_b32 v7, 63, v0 bitop3:0x40
	s_delay_alu instid0(VALU_DEP_1) | instskip(SKIP_1) | instid1(VALU_DEP_1)
	v_lshlrev_b64_e32 v[2:3], 10, v[2:3]
	s_wait_dscnt 0x0
	v_add_nc_u64_e32 v[4:5], v[4:5], v[2:3]
	s_wait_kmcnt 0x0
	v_dual_mov_b32 v2, s4 :: v_dual_mov_b32 v3, s5
	s_delay_alu instid0(VALU_DEP_2) | instskip(NEXT) | instid1(VALU_DEP_3)
	v_readfirstlane_b32 s4, v4
	v_readfirstlane_b32 s5, v5
	flat_store_b128 v7, v[0:3], s[4:5] scale_offset
	ds_load_b64 v[4:5], v41 offset:17040
	s_wait_xcnt 0x0
	ds_load_b32 v2, v41 offset:17068
	s_branch .LBB1_93
.LBB1_99:                               ;   in Loop: Header=BB1_94 Depth=2
                                        ; implicit-def: $vgpr3
	s_branch .LBB1_96
.LBB1_100:                              ;   in Loop: Header=BB1_90 Depth=1
	s_or_b32 exec_lo, exec_lo, s0
	ds_load_u16 v0, v41 offset:17066
	s_mov_b32 s0, -1
	s_wait_dscnt 0x0
	v_and_b32_e32 v1, 0xffff, v0
	v_readfirstlane_b32 s100, v0
	s_delay_alu instid0(VALU_DEP_2)
	v_cmp_lt_u32_e32 vcc_lo, 0x58, v1
	s_cbranch_vccz .LBB1_265
; %bb.101:                              ;   in Loop: Header=BB1_90 Depth=1
	s_and_b32 s101, 0xffff, s100
	s_delay_alu instid0(SALU_CYCLE_1)
	s_cmp_gt_u32 s101, 0x85
	s_cbranch_scc0 .LBB1_180
; %bb.102:                              ;   in Loop: Header=BB1_90 Depth=1
	s_cmp_gt_u32 s101, 0x9b
	s_cbranch_scc0 .LBB1_142
; %bb.103:                              ;   in Loop: Header=BB1_90 Depth=1
	;; [unrolled: 3-line block ×6, first 2 shown]
	s_mov_b64 s[4:5], s[48:49]
	v_mov_b32_e32 v31, v40
	s_mov_b64 s[6:7], s[38:39]
	s_mov_b64 s[8:9], s[50:51]
	;; [unrolled: 1-line block ×3, first 2 shown]
	s_or_saveexec_b32 s105, -1
	scratch_load_b32 v58, off, off          ; 4-byte Folded Reload
	s_wait_xcnt 0x0
	s_mov_b32 exec_lo, s105
	s_wait_loadcnt 0x0
	v_readlane_b32 s0, v58, 0
	v_readlane_b32 s1, v58, 1
	s_swap_pc_i64 s[30:31], s[0:1]
	s_mov_b32 s0, 0
.LBB1_108:                              ;   in Loop: Header=BB1_90 Depth=1
	s_delay_alu instid0(SALU_CYCLE_1)
	s_and_not1_b32 vcc_lo, exec_lo, s0
	s_cbranch_vccnz .LBB1_110
; %bb.109:                              ;   in Loop: Header=BB1_90 Depth=1
	s_mov_b64 s[4:5], s[48:49]
	v_mov_b32_e32 v31, v40
	s_mov_b64 s[6:7], s[38:39]
	s_mov_b64 s[8:9], s[50:51]
	;; [unrolled: 1-line block ×3, first 2 shown]
	s_or_saveexec_b32 s105, -1
	scratch_load_b32 v58, off, off          ; 4-byte Folded Reload
	s_wait_xcnt 0x0
	s_mov_b32 exec_lo, s105
	s_wait_loadcnt 0x0
	v_readlane_b32 s0, v58, 2
	v_readlane_b32 s1, v58, 3
	s_swap_pc_i64 s[30:31], s[0:1]
.LBB1_110:                              ;   in Loop: Header=BB1_90 Depth=1
	s_mov_b32 s0, 0
.LBB1_111:                              ;   in Loop: Header=BB1_90 Depth=1
	s_delay_alu instid0(SALU_CYCLE_1)
	s_and_not1_b32 vcc_lo, exec_lo, s0
	s_cbranch_vccnz .LBB1_116
; %bb.112:                              ;   in Loop: Header=BB1_90 Depth=1
	s_cmp_lg_u32 s101, 0xad
	s_mov_b32 s0, -1
	s_cbranch_scc0 .LBB1_114
; %bb.113:                              ;   in Loop: Header=BB1_90 Depth=1
	s_mov_b64 s[4:5], s[48:49]
	v_mov_b32_e32 v31, v40
	s_mov_b64 s[6:7], s[38:39]
	s_mov_b64 s[8:9], s[50:51]
	;; [unrolled: 1-line block ×3, first 2 shown]
	s_or_saveexec_b32 s105, -1
	scratch_load_b32 v58, off, off          ; 4-byte Folded Reload
	s_wait_xcnt 0x0
	s_mov_b32 exec_lo, s105
	s_wait_loadcnt 0x0
	v_readlane_b32 s0, v58, 4
	v_readlane_b32 s1, v58, 5
	s_swap_pc_i64 s[30:31], s[0:1]
	s_mov_b32 s0, 0
.LBB1_114:                              ;   in Loop: Header=BB1_90 Depth=1
	s_delay_alu instid0(SALU_CYCLE_1)
	s_and_not1_b32 vcc_lo, exec_lo, s0
	s_cbranch_vccnz .LBB1_116
; %bb.115:                              ;   in Loop: Header=BB1_90 Depth=1
	s_mov_b64 s[4:5], s[48:49]
	v_mov_b32_e32 v31, v40
	s_mov_b64 s[6:7], s[38:39]
	s_mov_b64 s[8:9], s[50:51]
	;; [unrolled: 1-line block ×3, first 2 shown]
	s_or_saveexec_b32 s105, -1
	scratch_load_b32 v58, off, off          ; 4-byte Folded Reload
	s_wait_xcnt 0x0
	s_mov_b32 exec_lo, s105
	s_wait_loadcnt 0x0
	v_readlane_b32 s0, v58, 6
	v_readlane_b32 s1, v58, 7
	s_swap_pc_i64 s[30:31], s[0:1]
.LBB1_116:                              ;   in Loop: Header=BB1_90 Depth=1
	s_mov_b32 s0, 0
.LBB1_117:                              ;   in Loop: Header=BB1_90 Depth=1
	s_delay_alu instid0(SALU_CYCLE_1)
	s_and_not1_b32 vcc_lo, exec_lo, s0
	s_cbranch_vccnz .LBB1_125
; %bb.118:                              ;   in Loop: Header=BB1_90 Depth=1
	s_cmp_gt_u32 s101, 0xa9
	s_mov_b32 s0, -1
	s_cbranch_scc0 .LBB1_120
; %bb.119:                              ;   in Loop: Header=BB1_90 Depth=1
	s_mov_b64 s[4:5], s[48:49]
	v_mov_b32_e32 v31, v40
	s_mov_b64 s[6:7], s[38:39]
	s_mov_b64 s[8:9], s[50:51]
	s_mov_b64 s[10:11], s[34:35]
	s_or_saveexec_b32 s105, -1
	scratch_load_b32 v58, off, off          ; 4-byte Folded Reload
	s_wait_xcnt 0x0
	s_mov_b32 exec_lo, s105
	s_wait_loadcnt 0x0
	v_readlane_b32 s0, v58, 8
	v_readlane_b32 s1, v58, 9
	s_swap_pc_i64 s[30:31], s[0:1]
	s_mov_b32 s0, 0
.LBB1_120:                              ;   in Loop: Header=BB1_90 Depth=1
	s_delay_alu instid0(SALU_CYCLE_1)
	s_and_not1_b32 vcc_lo, exec_lo, s0
	s_cbranch_vccnz .LBB1_125
; %bb.121:                              ;   in Loop: Header=BB1_90 Depth=1
	s_cmp_lg_u32 s101, 0xa7
	s_mov_b32 s0, -1
	s_cbranch_scc0 .LBB1_123
; %bb.122:                              ;   in Loop: Header=BB1_90 Depth=1
	s_mov_b64 s[4:5], s[48:49]
	v_mov_b32_e32 v31, v40
	s_mov_b64 s[6:7], s[38:39]
	s_mov_b64 s[8:9], s[50:51]
	;; [unrolled: 1-line block ×3, first 2 shown]
	s_or_saveexec_b32 s105, -1
	scratch_load_b32 v58, off, off          ; 4-byte Folded Reload
	s_wait_xcnt 0x0
	s_mov_b32 exec_lo, s105
	s_wait_loadcnt 0x0
	v_readlane_b32 s0, v58, 10
	v_readlane_b32 s1, v58, 11
	s_swap_pc_i64 s[30:31], s[0:1]
	s_mov_b32 s0, 0
.LBB1_123:                              ;   in Loop: Header=BB1_90 Depth=1
	s_delay_alu instid0(SALU_CYCLE_1)
	s_and_not1_b32 vcc_lo, exec_lo, s0
	s_cbranch_vccnz .LBB1_125
; %bb.124:                              ;   in Loop: Header=BB1_90 Depth=1
	s_mov_b64 s[4:5], s[48:49]
	v_mov_b32_e32 v31, v40
	s_mov_b64 s[6:7], s[38:39]
	s_mov_b64 s[8:9], s[50:51]
	s_mov_b64 s[10:11], s[34:35]
	s_or_saveexec_b32 s105, -1
	scratch_load_b32 v58, off, off          ; 4-byte Folded Reload
	s_wait_xcnt 0x0
	s_mov_b32 exec_lo, s105
	s_wait_loadcnt 0x0
	v_readlane_b32 s0, v58, 12
	v_readlane_b32 s1, v58, 13
	s_swap_pc_i64 s[30:31], s[0:1]
.LBB1_125:                              ;   in Loop: Header=BB1_90 Depth=1
	s_mov_b32 s0, 0
.LBB1_126:                              ;   in Loop: Header=BB1_90 Depth=1
	s_delay_alu instid0(SALU_CYCLE_1)
	s_and_not1_b32 vcc_lo, exec_lo, s0
	s_cbranch_vccnz .LBB1_141
; %bb.127:                              ;   in Loop: Header=BB1_90 Depth=1
	s_cmp_gt_u32 s101, 0xa0
	s_mov_b32 s0, -1
	s_cbranch_scc0 .LBB1_136
; %bb.128:                              ;   in Loop: Header=BB1_90 Depth=1
	s_cmp_gt_u32 s101, 0xa3
	s_cbranch_scc0 .LBB1_130
; %bb.129:                              ;   in Loop: Header=BB1_90 Depth=1
	s_mov_b64 s[4:5], s[48:49]
	v_mov_b32_e32 v31, v40
	s_mov_b64 s[6:7], s[38:39]
	s_mov_b64 s[8:9], s[50:51]
	;; [unrolled: 1-line block ×3, first 2 shown]
	s_or_saveexec_b32 s105, -1
	scratch_load_b32 v58, off, off          ; 4-byte Folded Reload
	s_wait_xcnt 0x0
	s_mov_b32 exec_lo, s105
	s_wait_loadcnt 0x0
	v_readlane_b32 s0, v58, 14
	v_readlane_b32 s1, v58, 15
	s_swap_pc_i64 s[30:31], s[0:1]
	s_mov_b32 s0, 0
.LBB1_130:                              ;   in Loop: Header=BB1_90 Depth=1
	s_delay_alu instid0(SALU_CYCLE_1)
	s_and_not1_b32 vcc_lo, exec_lo, s0
	s_cbranch_vccnz .LBB1_135
; %bb.131:                              ;   in Loop: Header=BB1_90 Depth=1
	s_cmp_lg_u32 s101, 0xa1
	s_mov_b32 s0, -1
	s_cbranch_scc0 .LBB1_133
; %bb.132:                              ;   in Loop: Header=BB1_90 Depth=1
	s_mov_b64 s[4:5], s[48:49]
	v_mov_b32_e32 v31, v40
	s_mov_b64 s[6:7], s[38:39]
	s_mov_b64 s[8:9], s[50:51]
	;; [unrolled: 1-line block ×3, first 2 shown]
	s_or_saveexec_b32 s105, -1
	scratch_load_b32 v58, off, off          ; 4-byte Folded Reload
	s_wait_xcnt 0x0
	s_mov_b32 exec_lo, s105
	s_wait_loadcnt 0x0
	v_readlane_b32 s0, v58, 16
	v_readlane_b32 s1, v58, 17
	s_swap_pc_i64 s[30:31], s[0:1]
	s_mov_b32 s0, 0
.LBB1_133:                              ;   in Loop: Header=BB1_90 Depth=1
	s_delay_alu instid0(SALU_CYCLE_1)
	s_and_not1_b32 vcc_lo, exec_lo, s0
	s_cbranch_vccnz .LBB1_135
; %bb.134:                              ;   in Loop: Header=BB1_90 Depth=1
	s_mov_b64 s[4:5], s[48:49]
	v_mov_b32_e32 v31, v40
	s_mov_b64 s[6:7], s[38:39]
	s_mov_b64 s[8:9], s[50:51]
	s_mov_b64 s[10:11], s[34:35]
	s_or_saveexec_b32 s105, -1
	scratch_load_b32 v58, off, off          ; 4-byte Folded Reload
	s_wait_xcnt 0x0
	s_mov_b32 exec_lo, s105
	s_wait_loadcnt 0x0
	v_readlane_b32 s0, v58, 18
	v_readlane_b32 s1, v58, 19
	s_swap_pc_i64 s[30:31], s[0:1]
.LBB1_135:                              ;   in Loop: Header=BB1_90 Depth=1
	s_mov_b32 s0, 0
.LBB1_136:                              ;   in Loop: Header=BB1_90 Depth=1
	s_delay_alu instid0(SALU_CYCLE_1)
	s_and_not1_b32 vcc_lo, exec_lo, s0
	s_cbranch_vccnz .LBB1_141
; %bb.137:                              ;   in Loop: Header=BB1_90 Depth=1
	s_cmp_gt_u32 s101, 0x9d
	s_mov_b32 s0, -1
	s_cbranch_scc0 .LBB1_139
; %bb.138:                              ;   in Loop: Header=BB1_90 Depth=1
	s_mov_b64 s[4:5], s[48:49]
	v_mov_b32_e32 v31, v40
	s_mov_b64 s[6:7], s[38:39]
	s_mov_b64 s[8:9], s[50:51]
	;; [unrolled: 1-line block ×3, first 2 shown]
	s_or_saveexec_b32 s105, -1
	scratch_load_b32 v58, off, off          ; 4-byte Folded Reload
	s_wait_xcnt 0x0
	s_mov_b32 exec_lo, s105
	s_wait_loadcnt 0x0
	v_readlane_b32 s0, v58, 20
	v_readlane_b32 s1, v58, 21
	s_swap_pc_i64 s[30:31], s[0:1]
	s_mov_b32 s0, 0
.LBB1_139:                              ;   in Loop: Header=BB1_90 Depth=1
	s_delay_alu instid0(SALU_CYCLE_1)
	s_and_not1_b32 vcc_lo, exec_lo, s0
	s_cbranch_vccnz .LBB1_141
; %bb.140:                              ;   in Loop: Header=BB1_90 Depth=1
	s_mov_b64 s[4:5], s[48:49]
	v_mov_b32_e32 v31, v40
	s_mov_b64 s[6:7], s[38:39]
	s_mov_b64 s[8:9], s[50:51]
	;; [unrolled: 1-line block ×3, first 2 shown]
	s_or_saveexec_b32 s105, -1
	scratch_load_b32 v58, off, off          ; 4-byte Folded Reload
	s_wait_xcnt 0x0
	s_mov_b32 exec_lo, s105
	s_wait_loadcnt 0x0
	v_readlane_b32 s0, v58, 22
	v_readlane_b32 s1, v58, 23
	s_swap_pc_i64 s[30:31], s[0:1]
.LBB1_141:                              ;   in Loop: Header=BB1_90 Depth=1
	s_mov_b32 s0, 0
.LBB1_142:                              ;   in Loop: Header=BB1_90 Depth=1
	s_delay_alu instid0(SALU_CYCLE_1)
	s_and_not1_b32 vcc_lo, exec_lo, s0
	s_cbranch_vccnz .LBB1_179
; %bb.143:                              ;   in Loop: Header=BB1_90 Depth=1
	s_cmp_gt_u32 s101, 0x90
	s_mov_b32 s0, -1
	s_cbranch_scc0 .LBB1_160
; %bb.144:                              ;   in Loop: Header=BB1_90 Depth=1
	s_cmp_gt_u32 s101, 0x95
	s_cbranch_scc0 .LBB1_154
; %bb.145:                              ;   in Loop: Header=BB1_90 Depth=1
	s_cmp_gt_u32 s101, 0x98
	s_cbranch_scc0 .LBB1_151
; %bb.146:                              ;   in Loop: Header=BB1_90 Depth=1
	s_cmp_lg_u32 s101, 0x99
	s_cbranch_scc0 .LBB1_148
; %bb.147:                              ;   in Loop: Header=BB1_90 Depth=1
	s_mov_b64 s[4:5], s[48:49]
	v_mov_b32_e32 v31, v40
	s_mov_b64 s[6:7], s[38:39]
	s_mov_b64 s[8:9], s[50:51]
	s_mov_b64 s[10:11], s[34:35]
	s_or_saveexec_b32 s105, -1
	scratch_load_b32 v58, off, off          ; 4-byte Folded Reload
	s_wait_xcnt 0x0
	s_mov_b32 exec_lo, s105
	s_wait_loadcnt 0x0
	v_readlane_b32 s0, v58, 24
	v_readlane_b32 s1, v58, 25
	s_swap_pc_i64 s[30:31], s[0:1]
	s_mov_b32 s0, 0
.LBB1_148:                              ;   in Loop: Header=BB1_90 Depth=1
	s_delay_alu instid0(SALU_CYCLE_1)
	s_and_not1_b32 vcc_lo, exec_lo, s0
	s_cbranch_vccnz .LBB1_150
; %bb.149:                              ;   in Loop: Header=BB1_90 Depth=1
	s_mov_b64 s[4:5], s[48:49]
	v_mov_b32_e32 v31, v40
	s_mov_b64 s[6:7], s[38:39]
	s_mov_b64 s[8:9], s[50:51]
	;; [unrolled: 1-line block ×3, first 2 shown]
	s_or_saveexec_b32 s105, -1
	scratch_load_b32 v58, off, off          ; 4-byte Folded Reload
	s_wait_xcnt 0x0
	s_mov_b32 exec_lo, s105
	s_wait_loadcnt 0x0
	v_readlane_b32 s0, v58, 26
	v_readlane_b32 s1, v58, 27
	s_swap_pc_i64 s[30:31], s[0:1]
.LBB1_150:                              ;   in Loop: Header=BB1_90 Depth=1
	s_mov_b32 s0, 0
.LBB1_151:                              ;   in Loop: Header=BB1_90 Depth=1
	s_delay_alu instid0(SALU_CYCLE_1)
	s_and_not1_b32 vcc_lo, exec_lo, s0
	s_cbranch_vccnz .LBB1_153
; %bb.152:                              ;   in Loop: Header=BB1_90 Depth=1
	v_mov_b32_e32 v31, v40
	s_mov_b64 s[4:5], s[48:49]
	s_mov_b64 s[6:7], s[38:39]
	;; [unrolled: 1-line block ×4, first 2 shown]
	s_swap_pc_i64 s[30:31], s[64:65]
.LBB1_153:                              ;   in Loop: Header=BB1_90 Depth=1
	s_mov_b32 s0, 0
.LBB1_154:                              ;   in Loop: Header=BB1_90 Depth=1
	s_delay_alu instid0(SALU_CYCLE_1)
	s_and_not1_b32 vcc_lo, exec_lo, s0
	s_cbranch_vccnz .LBB1_159
; %bb.155:                              ;   in Loop: Header=BB1_90 Depth=1
	s_cmp_gt_u32 s101, 0x93
	s_mov_b32 s0, -1
	s_cbranch_scc0 .LBB1_157
; %bb.156:                              ;   in Loop: Header=BB1_90 Depth=1
	v_mov_b32_e32 v31, v40
	s_mov_b64 s[4:5], s[48:49]
	s_mov_b64 s[6:7], s[38:39]
	;; [unrolled: 1-line block ×4, first 2 shown]
	s_swap_pc_i64 s[30:31], s[66:67]
	s_mov_b32 s0, 0
.LBB1_157:                              ;   in Loop: Header=BB1_90 Depth=1
	s_delay_alu instid0(SALU_CYCLE_1)
	s_and_not1_b32 vcc_lo, exec_lo, s0
	s_cbranch_vccnz .LBB1_159
; %bb.158:                              ;   in Loop: Header=BB1_90 Depth=1
	v_mov_b32_e32 v31, v40
	s_mov_b64 s[4:5], s[48:49]
	s_mov_b64 s[6:7], s[38:39]
	;; [unrolled: 1-line block ×4, first 2 shown]
	s_swap_pc_i64 s[30:31], s[68:69]
.LBB1_159:                              ;   in Loop: Header=BB1_90 Depth=1
	s_mov_b32 s0, 0
.LBB1_160:                              ;   in Loop: Header=BB1_90 Depth=1
	s_delay_alu instid0(SALU_CYCLE_1)
	s_and_not1_b32 vcc_lo, exec_lo, s0
	s_cbranch_vccnz .LBB1_179
; %bb.161:                              ;   in Loop: Header=BB1_90 Depth=1
	s_cmp_gt_u32 s101, 0x8a
	s_mov_b32 s0, -1
	s_cbranch_scc0 .LBB1_174
; %bb.162:                              ;   in Loop: Header=BB1_90 Depth=1
	s_cmp_gt_u32 s101, 0x8d
	s_cbranch_scc0 .LBB1_168
; %bb.163:                              ;   in Loop: Header=BB1_90 Depth=1
	s_cmp_eq_u32 s101, 0x90
	s_cbranch_scc1 .LBB1_165
; %bb.164:                              ;   in Loop: Header=BB1_90 Depth=1
	s_mov_b64 s[4:5], s[48:49]
	v_mov_b32_e32 v31, v40
	s_mov_b64 s[6:7], s[38:39]
	s_mov_b64 s[8:9], s[50:51]
	;; [unrolled: 1-line block ×3, first 2 shown]
	s_or_saveexec_b32 s105, -1
	scratch_load_b32 v58, off, off          ; 4-byte Folded Reload
	s_wait_xcnt 0x0
	s_mov_b32 exec_lo, s105
	s_wait_loadcnt 0x0
	v_readlane_b32 s0, v58, 28
	v_readlane_b32 s1, v58, 29
	s_swap_pc_i64 s[30:31], s[0:1]
	s_mov_b32 s0, 0
.LBB1_165:                              ;   in Loop: Header=BB1_90 Depth=1
	s_delay_alu instid0(SALU_CYCLE_1)
	s_and_not1_b32 vcc_lo, exec_lo, s0
	s_cbranch_vccnz .LBB1_167
; %bb.166:                              ;   in Loop: Header=BB1_90 Depth=1
	s_mov_b64 s[4:5], s[48:49]
	v_mov_b32_e32 v31, v40
	s_mov_b64 s[6:7], s[38:39]
	s_mov_b64 s[8:9], s[50:51]
	;; [unrolled: 1-line block ×3, first 2 shown]
	s_or_saveexec_b32 s105, -1
	scratch_load_b32 v58, off, off          ; 4-byte Folded Reload
	s_wait_xcnt 0x0
	s_mov_b32 exec_lo, s105
	s_wait_loadcnt 0x0
	v_readlane_b32 s0, v58, 30
	v_readlane_b32 s1, v58, 31
	s_swap_pc_i64 s[30:31], s[0:1]
.LBB1_167:                              ;   in Loop: Header=BB1_90 Depth=1
	s_mov_b32 s0, 0
.LBB1_168:                              ;   in Loop: Header=BB1_90 Depth=1
	s_delay_alu instid0(SALU_CYCLE_1)
	s_and_not1_b32 vcc_lo, exec_lo, s0
	s_cbranch_vccnz .LBB1_173
; %bb.169:                              ;   in Loop: Header=BB1_90 Depth=1
	s_cmp_lg_u32 s101, 0x8b
	s_mov_b32 s0, -1
	s_cbranch_scc0 .LBB1_171
; %bb.170:                              ;   in Loop: Header=BB1_90 Depth=1
	s_mov_b64 s[4:5], s[48:49]
	v_mov_b32_e32 v31, v40
	s_mov_b64 s[6:7], s[38:39]
	s_mov_b64 s[8:9], s[50:51]
	;; [unrolled: 1-line block ×3, first 2 shown]
	s_or_saveexec_b32 s105, -1
	scratch_load_b32 v58, off, off offset:4 ; 4-byte Folded Reload
	s_wait_xcnt 0x0
	s_mov_b32 exec_lo, s105
	s_wait_loadcnt 0x0
	v_readlane_b32 s0, v58, 0
	v_readlane_b32 s1, v58, 1
	s_swap_pc_i64 s[30:31], s[0:1]
	s_mov_b32 s0, 0
.LBB1_171:                              ;   in Loop: Header=BB1_90 Depth=1
	s_delay_alu instid0(SALU_CYCLE_1)
	s_and_not1_b32 vcc_lo, exec_lo, s0
	s_cbranch_vccnz .LBB1_173
; %bb.172:                              ;   in Loop: Header=BB1_90 Depth=1
	s_mov_b64 s[4:5], s[48:49]
	v_mov_b32_e32 v31, v40
	s_mov_b64 s[6:7], s[38:39]
	s_mov_b64 s[8:9], s[50:51]
	;; [unrolled: 1-line block ×3, first 2 shown]
	s_or_saveexec_b32 s105, -1
	scratch_load_b32 v58, off, off offset:4 ; 4-byte Folded Reload
	s_wait_xcnt 0x0
	s_mov_b32 exec_lo, s105
	s_wait_loadcnt 0x0
	v_readlane_b32 s0, v58, 2
	v_readlane_b32 s1, v58, 3
	s_swap_pc_i64 s[30:31], s[0:1]
.LBB1_173:                              ;   in Loop: Header=BB1_90 Depth=1
	s_mov_b32 s0, 0
.LBB1_174:                              ;   in Loop: Header=BB1_90 Depth=1
	s_delay_alu instid0(SALU_CYCLE_1)
	s_and_not1_b32 vcc_lo, exec_lo, s0
	s_cbranch_vccnz .LBB1_179
; %bb.175:                              ;   in Loop: Header=BB1_90 Depth=1
	s_cmp_gt_u32 s101, 0x87
	s_mov_b32 s0, -1
	s_cbranch_scc0 .LBB1_177
; %bb.176:                              ;   in Loop: Header=BB1_90 Depth=1
	v_mov_b32_e32 v31, v40
	s_mov_b64 s[4:5], s[48:49]
	s_mov_b64 s[6:7], s[38:39]
	;; [unrolled: 1-line block ×4, first 2 shown]
	s_swap_pc_i64 s[30:31], s[102:103]
	s_mov_b32 s0, 0
.LBB1_177:                              ;   in Loop: Header=BB1_90 Depth=1
	s_delay_alu instid0(SALU_CYCLE_1)
	s_and_not1_b32 vcc_lo, exec_lo, s0
	s_cbranch_vccnz .LBB1_179
; %bb.178:                              ;   in Loop: Header=BB1_90 Depth=1
	v_mov_b32_e32 v31, v40
	s_mov_b64 s[4:5], s[48:49]
	s_mov_b64 s[6:7], s[38:39]
	;; [unrolled: 1-line block ×4, first 2 shown]
	s_swap_pc_i64 s[30:31], s[54:55]
.LBB1_179:                              ;   in Loop: Header=BB1_90 Depth=1
	s_mov_b32 s0, 0
.LBB1_180:                              ;   in Loop: Header=BB1_90 Depth=1
	s_delay_alu instid0(SALU_CYCLE_1)
	s_and_not1_b32 vcc_lo, exec_lo, s0
	s_cbranch_vccnz .LBB1_264
; %bb.181:                              ;   in Loop: Header=BB1_90 Depth=1
	s_cmp_gt_u32 s101, 0x6e
	s_mov_b32 s0, -1
	s_cbranch_scc0 .LBB1_223
; %bb.182:                              ;   in Loop: Header=BB1_90 Depth=1
	s_cmp_gt_u32 s101, 0x79
	s_cbranch_scc0 .LBB1_202
; %bb.183:                              ;   in Loop: Header=BB1_90 Depth=1
	s_cmp_gt_u32 s101, 0x7f
	;; [unrolled: 3-line block ×3, first 2 shown]
	s_cbranch_scc0 .LBB1_190
; %bb.185:                              ;   in Loop: Header=BB1_90 Depth=1
	s_cmp_lg_u32 s101, 0x83
	s_cbranch_scc0 .LBB1_187
; %bb.186:                              ;   in Loop: Header=BB1_90 Depth=1
	s_mov_b64 s[4:5], s[48:49]
	v_mov_b32_e32 v31, v40
	s_mov_b64 s[6:7], s[38:39]
	s_mov_b64 s[8:9], s[50:51]
	;; [unrolled: 1-line block ×3, first 2 shown]
	s_or_saveexec_b32 s105, -1
	scratch_load_b32 v58, off, off offset:4 ; 4-byte Folded Reload
	s_wait_xcnt 0x0
	s_mov_b32 exec_lo, s105
	s_wait_loadcnt 0x0
	v_readlane_b32 s0, v58, 4
	v_readlane_b32 s1, v58, 5
	s_swap_pc_i64 s[30:31], s[0:1]
	s_mov_b32 s0, 0
.LBB1_187:                              ;   in Loop: Header=BB1_90 Depth=1
	s_delay_alu instid0(SALU_CYCLE_1)
	s_and_not1_b32 vcc_lo, exec_lo, s0
	s_cbranch_vccnz .LBB1_189
; %bb.188:                              ;   in Loop: Header=BB1_90 Depth=1
	s_mov_b64 s[4:5], s[48:49]
	v_mov_b32_e32 v31, v40
	s_mov_b64 s[6:7], s[38:39]
	s_mov_b64 s[8:9], s[50:51]
	s_mov_b64 s[10:11], s[34:35]
	s_or_saveexec_b32 s105, -1
	scratch_load_b32 v58, off, off offset:4 ; 4-byte Folded Reload
	s_wait_xcnt 0x0
	s_mov_b32 exec_lo, s105
	s_wait_loadcnt 0x0
	v_readlane_b32 s0, v58, 6
	v_readlane_b32 s1, v58, 7
	s_swap_pc_i64 s[30:31], s[0:1]
.LBB1_189:                              ;   in Loop: Header=BB1_90 Depth=1
	s_mov_b32 s0, 0
.LBB1_190:                              ;   in Loop: Header=BB1_90 Depth=1
	s_delay_alu instid0(SALU_CYCLE_1)
	s_and_not1_b32 vcc_lo, exec_lo, s0
	s_cbranch_vccnz .LBB1_192
; %bb.191:                              ;   in Loop: Header=BB1_90 Depth=1
	v_mov_b32_e32 v31, v40
	s_mov_b64 s[4:5], s[48:49]
	s_mov_b64 s[6:7], s[38:39]
	;; [unrolled: 1-line block ×4, first 2 shown]
	s_swap_pc_i64 s[30:31], s[86:87]
.LBB1_192:                              ;   in Loop: Header=BB1_90 Depth=1
	s_mov_b32 s0, 0
.LBB1_193:                              ;   in Loop: Header=BB1_90 Depth=1
	s_delay_alu instid0(SALU_CYCLE_1)
	s_and_not1_b32 vcc_lo, exec_lo, s0
	s_cbranch_vccnz .LBB1_201
; %bb.194:                              ;   in Loop: Header=BB1_90 Depth=1
	s_cmp_gt_u32 s101, 0x7c
	s_mov_b32 s0, -1
	s_cbranch_scc0 .LBB1_196
; %bb.195:                              ;   in Loop: Header=BB1_90 Depth=1
	v_mov_b32_e32 v31, v40
	s_mov_b64 s[4:5], s[48:49]
	s_mov_b64 s[6:7], s[38:39]
	;; [unrolled: 1-line block ×4, first 2 shown]
	s_swap_pc_i64 s[30:31], s[96:97]
	s_mov_b32 s0, 0
.LBB1_196:                              ;   in Loop: Header=BB1_90 Depth=1
	s_delay_alu instid0(SALU_CYCLE_1)
	s_and_not1_b32 vcc_lo, exec_lo, s0
	s_cbranch_vccnz .LBB1_201
; %bb.197:                              ;   in Loop: Header=BB1_90 Depth=1
	s_cmp_eq_u32 s101, 0x7c
	s_mov_b32 s0, -1
	s_cbranch_scc1 .LBB1_199
; %bb.198:                              ;   in Loop: Header=BB1_90 Depth=1
	s_mov_b64 s[4:5], s[48:49]
	v_mov_b32_e32 v31, v40
	s_mov_b64 s[6:7], s[38:39]
	s_mov_b64 s[8:9], s[50:51]
	;; [unrolled: 1-line block ×3, first 2 shown]
	s_or_saveexec_b32 s105, -1
	scratch_load_b32 v58, off, off offset:4 ; 4-byte Folded Reload
	s_wait_xcnt 0x0
	s_mov_b32 exec_lo, s105
	s_wait_loadcnt 0x0
	v_readlane_b32 s0, v58, 8
	v_readlane_b32 s1, v58, 9
	s_swap_pc_i64 s[30:31], s[0:1]
	s_mov_b32 s0, 0
.LBB1_199:                              ;   in Loop: Header=BB1_90 Depth=1
	s_delay_alu instid0(SALU_CYCLE_1)
	s_and_not1_b32 vcc_lo, exec_lo, s0
	s_cbranch_vccnz .LBB1_201
; %bb.200:                              ;   in Loop: Header=BB1_90 Depth=1
	s_mov_b64 s[4:5], s[48:49]
	v_mov_b32_e32 v31, v40
	s_mov_b64 s[6:7], s[38:39]
	s_mov_b64 s[8:9], s[50:51]
	;; [unrolled: 1-line block ×3, first 2 shown]
	s_or_saveexec_b32 s105, -1
	scratch_load_b32 v58, off, off offset:4 ; 4-byte Folded Reload
	s_wait_xcnt 0x0
	s_mov_b32 exec_lo, s105
	s_wait_loadcnt 0x0
	v_readlane_b32 s0, v58, 10
	v_readlane_b32 s1, v58, 11
	s_swap_pc_i64 s[30:31], s[0:1]
.LBB1_201:                              ;   in Loop: Header=BB1_90 Depth=1
	s_mov_b32 s0, 0
.LBB1_202:                              ;   in Loop: Header=BB1_90 Depth=1
	s_delay_alu instid0(SALU_CYCLE_1)
	s_and_not1_b32 vcc_lo, exec_lo, s0
	s_cbranch_vccnz .LBB1_222
; %bb.203:                              ;   in Loop: Header=BB1_90 Depth=1
	s_cmp_gt_u32 s101, 0x73
	s_mov_b32 s0, -1
	s_cbranch_scc0 .LBB1_213
; %bb.204:                              ;   in Loop: Header=BB1_90 Depth=1
	s_cmp_gt_u32 s101, 0x76
	s_cbranch_scc0 .LBB1_210
; %bb.205:                              ;   in Loop: Header=BB1_90 Depth=1
	s_cmp_lg_u32 s101, 0x77
	s_cbranch_scc0 .LBB1_207
; %bb.206:                              ;   in Loop: Header=BB1_90 Depth=1
	s_mov_b64 s[4:5], s[48:49]
	v_mov_b32_e32 v31, v40
	s_mov_b64 s[6:7], s[38:39]
	s_mov_b64 s[8:9], s[50:51]
	;; [unrolled: 1-line block ×3, first 2 shown]
	s_or_saveexec_b32 s105, -1
	scratch_load_b32 v58, off, off offset:4 ; 4-byte Folded Reload
	s_wait_xcnt 0x0
	s_mov_b32 exec_lo, s105
	s_wait_loadcnt 0x0
	v_readlane_b32 s0, v58, 12
	v_readlane_b32 s1, v58, 13
	s_swap_pc_i64 s[30:31], s[0:1]
	s_mov_b32 s0, 0
.LBB1_207:                              ;   in Loop: Header=BB1_90 Depth=1
	s_delay_alu instid0(SALU_CYCLE_1)
	s_and_not1_b32 vcc_lo, exec_lo, s0
	s_cbranch_vccnz .LBB1_209
; %bb.208:                              ;   in Loop: Header=BB1_90 Depth=1
	s_mov_b64 s[4:5], s[48:49]
	v_mov_b32_e32 v31, v40
	s_mov_b64 s[6:7], s[38:39]
	s_mov_b64 s[8:9], s[50:51]
	s_mov_b64 s[10:11], s[34:35]
	s_or_saveexec_b32 s105, -1
	scratch_load_b32 v58, off, off offset:4 ; 4-byte Folded Reload
	s_wait_xcnt 0x0
	s_mov_b32 exec_lo, s105
	s_wait_loadcnt 0x0
	v_readlane_b32 s0, v58, 14
	v_readlane_b32 s1, v58, 15
	s_swap_pc_i64 s[30:31], s[0:1]
.LBB1_209:                              ;   in Loop: Header=BB1_90 Depth=1
	s_mov_b32 s0, 0
.LBB1_210:                              ;   in Loop: Header=BB1_90 Depth=1
	s_delay_alu instid0(SALU_CYCLE_1)
	s_and_not1_b32 vcc_lo, exec_lo, s0
	s_cbranch_vccnz .LBB1_212
; %bb.211:                              ;   in Loop: Header=BB1_90 Depth=1
	v_mov_b32_e32 v31, v40
	s_mov_b64 s[4:5], s[48:49]
	s_mov_b64 s[6:7], s[38:39]
	;; [unrolled: 1-line block ×4, first 2 shown]
	s_swap_pc_i64 s[30:31], s[80:81]
.LBB1_212:                              ;   in Loop: Header=BB1_90 Depth=1
	s_mov_b32 s0, 0
.LBB1_213:                              ;   in Loop: Header=BB1_90 Depth=1
	s_delay_alu instid0(SALU_CYCLE_1)
	s_and_not1_b32 vcc_lo, exec_lo, s0
	s_cbranch_vccnz .LBB1_222
; %bb.214:                              ;   in Loop: Header=BB1_90 Depth=1
	s_cmp_gt_u32 s101, 0x70
	s_mov_b32 s0, -1
	s_cbranch_scc0 .LBB1_220
; %bb.215:                              ;   in Loop: Header=BB1_90 Depth=1
	s_cmp_lg_u32 s101, 0x71
	s_cbranch_scc0 .LBB1_217
; %bb.216:                              ;   in Loop: Header=BB1_90 Depth=1
	s_mov_b64 s[4:5], s[48:49]
	v_mov_b32_e32 v31, v40
	s_mov_b64 s[6:7], s[38:39]
	s_mov_b64 s[8:9], s[50:51]
	;; [unrolled: 1-line block ×3, first 2 shown]
	s_or_saveexec_b32 s105, -1
	scratch_load_b32 v58, off, off offset:4 ; 4-byte Folded Reload
	s_wait_xcnt 0x0
	s_mov_b32 exec_lo, s105
	s_wait_loadcnt 0x0
	v_readlane_b32 s0, v58, 16
	v_readlane_b32 s1, v58, 17
	s_swap_pc_i64 s[30:31], s[0:1]
	s_mov_b32 s0, 0
.LBB1_217:                              ;   in Loop: Header=BB1_90 Depth=1
	s_delay_alu instid0(SALU_CYCLE_1)
	s_and_not1_b32 vcc_lo, exec_lo, s0
	s_cbranch_vccnz .LBB1_219
; %bb.218:                              ;   in Loop: Header=BB1_90 Depth=1
	s_mov_b64 s[4:5], s[48:49]
	v_mov_b32_e32 v31, v40
	s_mov_b64 s[6:7], s[38:39]
	s_mov_b64 s[8:9], s[50:51]
	;; [unrolled: 1-line block ×3, first 2 shown]
	s_or_saveexec_b32 s105, -1
	scratch_load_b32 v58, off, off offset:4 ; 4-byte Folded Reload
	s_wait_xcnt 0x0
	s_mov_b32 exec_lo, s105
	s_wait_loadcnt 0x0
	v_readlane_b32 s0, v58, 18
	v_readlane_b32 s1, v58, 19
	s_swap_pc_i64 s[30:31], s[0:1]
.LBB1_219:                              ;   in Loop: Header=BB1_90 Depth=1
	s_mov_b32 s0, 0
.LBB1_220:                              ;   in Loop: Header=BB1_90 Depth=1
	s_delay_alu instid0(SALU_CYCLE_1)
	s_and_not1_b32 vcc_lo, exec_lo, s0
	s_cbranch_vccnz .LBB1_222
; %bb.221:                              ;   in Loop: Header=BB1_90 Depth=1
	v_mov_b32_e32 v31, v40
	s_mov_b64 s[4:5], s[48:49]
	s_mov_b64 s[6:7], s[38:39]
	;; [unrolled: 1-line block ×4, first 2 shown]
	s_swap_pc_i64 s[30:31], s[82:83]
.LBB1_222:                              ;   in Loop: Header=BB1_90 Depth=1
	s_mov_b32 s0, 0
.LBB1_223:                              ;   in Loop: Header=BB1_90 Depth=1
	s_delay_alu instid0(SALU_CYCLE_1)
	s_and_not1_b32 vcc_lo, exec_lo, s0
	s_cbranch_vccnz .LBB1_264
; %bb.224:                              ;   in Loop: Header=BB1_90 Depth=1
	s_cmp_gt_u32 s101, 0x63
	s_mov_b32 s0, -1
	s_cbranch_scc0 .LBB1_241
; %bb.225:                              ;   in Loop: Header=BB1_90 Depth=1
	s_cmp_gt_u32 s101, 0x68
	s_cbranch_scc0 .LBB1_231
; %bb.226:                              ;   in Loop: Header=BB1_90 Depth=1
	s_cmp_gt_u32 s101, 0x6b
	s_cbranch_scc0 .LBB1_228
; %bb.227:                              ;   in Loop: Header=BB1_90 Depth=1
	v_mov_b32_e32 v31, v40
	s_mov_b64 s[4:5], s[48:49]
	s_mov_b64 s[6:7], s[38:39]
	;; [unrolled: 1-line block ×4, first 2 shown]
	s_swap_pc_i64 s[30:31], s[70:71]
	s_mov_b32 s0, 0
.LBB1_228:                              ;   in Loop: Header=BB1_90 Depth=1
	s_delay_alu instid0(SALU_CYCLE_1)
	s_and_not1_b32 vcc_lo, exec_lo, s0
	s_cbranch_vccnz .LBB1_230
; %bb.229:                              ;   in Loop: Header=BB1_90 Depth=1
	v_mov_b32_e32 v31, v40
	s_mov_b64 s[4:5], s[48:49]
	s_mov_b64 s[6:7], s[38:39]
	;; [unrolled: 1-line block ×4, first 2 shown]
	s_swap_pc_i64 s[30:31], s[84:85]
.LBB1_230:                              ;   in Loop: Header=BB1_90 Depth=1
	s_mov_b32 s0, 0
.LBB1_231:                              ;   in Loop: Header=BB1_90 Depth=1
	s_delay_alu instid0(SALU_CYCLE_1)
	s_and_not1_b32 vcc_lo, exec_lo, s0
	s_cbranch_vccnz .LBB1_240
; %bb.232:                              ;   in Loop: Header=BB1_90 Depth=1
	s_cmp_gt_u32 s101, 0x65
	s_mov_b32 s0, -1
	s_cbranch_scc0 .LBB1_238
; %bb.233:                              ;   in Loop: Header=BB1_90 Depth=1
	s_cmp_eq_u32 s101, 0x68
	s_cbranch_scc1 .LBB1_235
; %bb.234:                              ;   in Loop: Header=BB1_90 Depth=1
	s_mov_b64 s[4:5], s[48:49]
	v_mov_b32_e32 v31, v40
	s_mov_b64 s[6:7], s[38:39]
	s_mov_b64 s[8:9], s[50:51]
	;; [unrolled: 1-line block ×3, first 2 shown]
	s_or_saveexec_b32 s105, -1
	scratch_load_b32 v58, off, off offset:4 ; 4-byte Folded Reload
	s_wait_xcnt 0x0
	s_mov_b32 exec_lo, s105
	s_wait_loadcnt 0x0
	v_readlane_b32 s0, v58, 20
	v_readlane_b32 s1, v58, 21
	s_swap_pc_i64 s[30:31], s[0:1]
	s_mov_b32 s0, 0
.LBB1_235:                              ;   in Loop: Header=BB1_90 Depth=1
	s_delay_alu instid0(SALU_CYCLE_1)
	s_and_not1_b32 vcc_lo, exec_lo, s0
	s_cbranch_vccnz .LBB1_237
; %bb.236:                              ;   in Loop: Header=BB1_90 Depth=1
	s_mov_b64 s[4:5], s[48:49]
	v_mov_b32_e32 v31, v40
	s_mov_b64 s[6:7], s[38:39]
	s_mov_b64 s[8:9], s[50:51]
	;; [unrolled: 1-line block ×3, first 2 shown]
	s_or_saveexec_b32 s105, -1
	scratch_load_b32 v58, off, off offset:4 ; 4-byte Folded Reload
	s_wait_xcnt 0x0
	s_mov_b32 exec_lo, s105
	s_wait_loadcnt 0x0
	v_readlane_b32 s0, v58, 22
	v_readlane_b32 s1, v58, 23
	s_swap_pc_i64 s[30:31], s[0:1]
.LBB1_237:                              ;   in Loop: Header=BB1_90 Depth=1
	s_mov_b32 s0, 0
.LBB1_238:                              ;   in Loop: Header=BB1_90 Depth=1
	s_delay_alu instid0(SALU_CYCLE_1)
	s_and_not1_b32 vcc_lo, exec_lo, s0
	s_cbranch_vccnz .LBB1_240
; %bb.239:                              ;   in Loop: Header=BB1_90 Depth=1
	v_mov_b32_e32 v31, v40
	s_mov_b64 s[4:5], s[48:49]
	s_mov_b64 s[6:7], s[38:39]
	;; [unrolled: 1-line block ×4, first 2 shown]
	s_swap_pc_i64 s[30:31], s[98:99]
.LBB1_240:                              ;   in Loop: Header=BB1_90 Depth=1
	s_mov_b32 s0, 0
.LBB1_241:                              ;   in Loop: Header=BB1_90 Depth=1
	s_delay_alu instid0(SALU_CYCLE_1)
	s_and_not1_b32 vcc_lo, exec_lo, s0
	s_cbranch_vccnz .LBB1_264
; %bb.242:                              ;   in Loop: Header=BB1_90 Depth=1
	s_cmp_gt_u32 s101, 0x5d
	s_mov_b32 s0, -1
	s_cbranch_scc0 .LBB1_252
; %bb.243:                              ;   in Loop: Header=BB1_90 Depth=1
	s_cmp_gt_u32 s101, 0x60
	s_cbranch_scc0 .LBB1_249
; %bb.244:                              ;   in Loop: Header=BB1_90 Depth=1
	s_cmp_lg_u32 s101, 0x61
	s_cbranch_scc0 .LBB1_246
; %bb.245:                              ;   in Loop: Header=BB1_90 Depth=1
	s_mov_b64 s[4:5], s[48:49]
	v_mov_b32_e32 v31, v40
	s_mov_b64 s[6:7], s[38:39]
	s_mov_b64 s[8:9], s[50:51]
	;; [unrolled: 1-line block ×3, first 2 shown]
	s_or_saveexec_b32 s105, -1
	scratch_load_b32 v58, off, off offset:4 ; 4-byte Folded Reload
	s_wait_xcnt 0x0
	s_mov_b32 exec_lo, s105
	s_wait_loadcnt 0x0
	v_readlane_b32 s0, v58, 24
	v_readlane_b32 s1, v58, 25
	s_swap_pc_i64 s[30:31], s[0:1]
	s_mov_b32 s0, 0
.LBB1_246:                              ;   in Loop: Header=BB1_90 Depth=1
	s_delay_alu instid0(SALU_CYCLE_1)
	s_and_not1_b32 vcc_lo, exec_lo, s0
	s_cbranch_vccnz .LBB1_248
; %bb.247:                              ;   in Loop: Header=BB1_90 Depth=1
	v_mov_b32_e32 v31, v40
	s_get_pc_i64 s[0:1]
	s_add_nc_u64 s[0:1], s[0:1], _Z47ncclDevFunc_AllReduce_RING_SIMPLE_Sum_f16_0_0_2v@rel64+4
	s_mov_b64 s[4:5], s[48:49]
	s_mov_b64 s[6:7], s[38:39]
	;; [unrolled: 1-line block ×4, first 2 shown]
	s_swap_pc_i64 s[30:31], s[0:1]
.LBB1_248:                              ;   in Loop: Header=BB1_90 Depth=1
	s_mov_b32 s0, 0
.LBB1_249:                              ;   in Loop: Header=BB1_90 Depth=1
	s_delay_alu instid0(SALU_CYCLE_1)
	s_and_not1_b32 vcc_lo, exec_lo, s0
	s_cbranch_vccnz .LBB1_251
; %bb.250:                              ;   in Loop: Header=BB1_90 Depth=1
	v_mov_b32_e32 v31, v40
	s_get_pc_i64 s[0:1]
	s_add_nc_u64 s[0:1], s[0:1], _Z47ncclDevFunc_AllReduce_RING_SIMPLE_Sum_u64_0_0_2v@rel64+4
	s_mov_b64 s[4:5], s[48:49]
	s_mov_b64 s[6:7], s[38:39]
	;; [unrolled: 1-line block ×4, first 2 shown]
	s_swap_pc_i64 s[30:31], s[0:1]
.LBB1_251:                              ;   in Loop: Header=BB1_90 Depth=1
	s_mov_b32 s0, 0
.LBB1_252:                              ;   in Loop: Header=BB1_90 Depth=1
	s_delay_alu instid0(SALU_CYCLE_1)
	s_and_not1_b32 vcc_lo, exec_lo, s0
	s_cbranch_vccnz .LBB1_264
; %bb.253:                              ;   in Loop: Header=BB1_90 Depth=1
	s_cmp_gt_u32 s101, 0x5a
	s_mov_b32 s0, -1
	s_cbranch_scc0 .LBB1_259
; %bb.254:                              ;   in Loop: Header=BB1_90 Depth=1
	s_cmp_lg_u32 s101, 0x5b
	s_cbranch_scc0 .LBB1_256
; %bb.255:                              ;   in Loop: Header=BB1_90 Depth=1
	v_mov_b32_e32 v31, v40
	s_get_pc_i64 s[0:1]
	s_add_nc_u64 s[0:1], s[0:1], _Z47ncclDevFunc_AllReduce_RING_SIMPLE_Sum_u32_0_0_2v@rel64+4
	s_mov_b64 s[4:5], s[48:49]
	s_mov_b64 s[6:7], s[38:39]
	s_mov_b64 s[8:9], s[50:51]
	s_mov_b64 s[10:11], s[34:35]
	s_swap_pc_i64 s[30:31], s[0:1]
	s_mov_b32 s0, 0
.LBB1_256:                              ;   in Loop: Header=BB1_90 Depth=1
	s_delay_alu instid0(SALU_CYCLE_1)
	s_and_not1_b32 vcc_lo, exec_lo, s0
	s_cbranch_vccnz .LBB1_258
; %bb.257:                              ;   in Loop: Header=BB1_90 Depth=1
	v_mov_b32_e32 v31, v40
	s_get_pc_i64 s[0:1]
	s_add_nc_u64 s[0:1], s[0:1], _Z46ncclDevFunc_AllReduce_RING_SIMPLE_Sum_u8_0_0_2v@rel64+4
	s_mov_b64 s[4:5], s[48:49]
	s_mov_b64 s[6:7], s[38:39]
	;; [unrolled: 1-line block ×4, first 2 shown]
	s_swap_pc_i64 s[30:31], s[0:1]
.LBB1_258:                              ;   in Loop: Header=BB1_90 Depth=1
	s_mov_b32 s0, 0
.LBB1_259:                              ;   in Loop: Header=BB1_90 Depth=1
	s_delay_alu instid0(SALU_CYCLE_1)
	s_and_not1_b32 vcc_lo, exec_lo, s0
	s_cbranch_vccnz .LBB1_264
; %bb.260:                              ;   in Loop: Header=BB1_90 Depth=1
	s_cmp_eq_u32 s101, 0x5a
	s_mov_b32 s0, -1
	s_cbranch_scc1 .LBB1_262
; %bb.261:                              ;   in Loop: Header=BB1_90 Depth=1
	v_mov_b32_e32 v31, v40
	s_get_pc_i64 s[0:1]
	s_add_nc_u64 s[0:1], s[0:1], _Z54ncclDevFunc_ReduceScatter_RING_LL_SumPostDiv_u32_0_0_2v@rel64+4
	s_mov_b64 s[4:5], s[48:49]
	s_mov_b64 s[6:7], s[38:39]
	;; [unrolled: 1-line block ×4, first 2 shown]
	s_swap_pc_i64 s[30:31], s[0:1]
	s_mov_b32 s0, 0
.LBB1_262:                              ;   in Loop: Header=BB1_90 Depth=1
	s_delay_alu instid0(SALU_CYCLE_1)
	s_and_not1_b32 vcc_lo, exec_lo, s0
	s_cbranch_vccnz .LBB1_264
; %bb.263:                              ;   in Loop: Header=BB1_90 Depth=1
	v_mov_b32_e32 v31, v40
	s_get_pc_i64 s[0:1]
	s_add_nc_u64 s[0:1], s[0:1], _Z54ncclDevFunc_ReduceScatter_RING_LL_SumPostDiv_u64_0_0_2v@rel64+4
	s_mov_b64 s[4:5], s[48:49]
	s_mov_b64 s[6:7], s[38:39]
	;; [unrolled: 1-line block ×4, first 2 shown]
	s_swap_pc_i64 s[30:31], s[0:1]
.LBB1_264:                              ;   in Loop: Header=BB1_90 Depth=1
	s_mov_b32 s0, 0
.LBB1_265:                              ;   in Loop: Header=BB1_90 Depth=1
	s_delay_alu instid0(SALU_CYCLE_1)
	s_and_not1_b32 vcc_lo, exec_lo, s0
	s_cbranch_vccnz .LBB1_576
; %bb.266:                              ;   in Loop: Header=BB1_90 Depth=1
	s_and_b32 s101, 0xffff, s100
	s_mov_b32 s0, -1
	s_cmp_gt_u32 s101, 43
	s_cbranch_scc0 .LBB1_421
; %bb.267:                              ;   in Loop: Header=BB1_90 Depth=1
	s_cmp_gt_u32 s101, 0x41
	s_cbranch_scc0 .LBB1_350
; %bb.268:                              ;   in Loop: Header=BB1_90 Depth=1
	;; [unrolled: 3-line block ×5, first 2 shown]
	s_sext_i32_i16 s0, s100
	s_delay_alu instid0(SALU_CYCLE_1)
	s_cmp_lt_i32 s0, 0x57
	s_mov_b32 s0, -1
	s_cbranch_scc1 .LBB1_277
; %bb.272:                              ;   in Loop: Header=BB1_90 Depth=1
	s_cmp_lg_u32 s101, 0x57
	s_cbranch_scc0 .LBB1_274
; %bb.273:                              ;   in Loop: Header=BB1_90 Depth=1
	v_mov_b32_e32 v31, v40
	s_get_pc_i64 s[0:1]
	s_add_nc_u64 s[0:1], s[0:1], _Z53ncclDevFunc_ReduceScatter_RING_LL_SumPostDiv_u8_0_0_2v@rel64+4
	s_mov_b64 s[4:5], s[48:49]
	s_mov_b64 s[6:7], s[38:39]
	;; [unrolled: 1-line block ×4, first 2 shown]
	s_swap_pc_i64 s[30:31], s[0:1]
	s_mov_b32 s0, 0
.LBB1_274:                              ;   in Loop: Header=BB1_90 Depth=1
	s_delay_alu instid0(SALU_CYCLE_1)
	s_and_not1_b32 vcc_lo, exec_lo, s0
	s_cbranch_vccnz .LBB1_276
; %bb.275:                              ;   in Loop: Header=BB1_90 Depth=1
	v_mov_b32_e32 v31, v40
	s_get_pc_i64 s[0:1]
	s_add_nc_u64 s[0:1], s[0:1], _Z56ncclDevFunc_ReduceScatter_RING_LL_PreMulSum_f8e5m2_0_0_2v@rel64+4
	s_mov_b64 s[4:5], s[48:49]
	s_mov_b64 s[6:7], s[38:39]
	s_mov_b64 s[8:9], s[50:51]
	s_mov_b64 s[10:11], s[34:35]
	s_swap_pc_i64 s[30:31], s[0:1]
.LBB1_276:                              ;   in Loop: Header=BB1_90 Depth=1
	s_mov_b32 s0, 0
.LBB1_277:                              ;   in Loop: Header=BB1_90 Depth=1
	s_delay_alu instid0(SALU_CYCLE_1)
	s_and_not1_b32 vcc_lo, exec_lo, s0
	s_cbranch_vccnz .LBB1_279
; %bb.278:                              ;   in Loop: Header=BB1_90 Depth=1
	v_mov_b32_e32 v31, v40
	s_get_pc_i64 s[0:1]
	s_add_nc_u64 s[0:1], s[0:1], _Z56ncclDevFunc_ReduceScatter_RING_LL_PreMulSum_f8e4m3_0_0_2v@rel64+4
	s_mov_b64 s[4:5], s[48:49]
	s_mov_b64 s[6:7], s[38:39]
	;; [unrolled: 1-line block ×4, first 2 shown]
	s_swap_pc_i64 s[30:31], s[0:1]
.LBB1_279:                              ;   in Loop: Header=BB1_90 Depth=1
	s_mov_b32 s0, 0
.LBB1_280:                              ;   in Loop: Header=BB1_90 Depth=1
	s_delay_alu instid0(SALU_CYCLE_1)
	s_and_b32 vcc_lo, exec_lo, s0
	s_cbranch_vccz .LBB1_289
; %bb.281:                              ;   in Loop: Header=BB1_90 Depth=1
	s_sext_i32_i16 s0, s100
	s_delay_alu instid0(SALU_CYCLE_1)
	s_cmp_lt_i32 s0, 0x54
	s_mov_b32 s0, -1
	s_cbranch_scc1 .LBB1_287
; %bb.282:                              ;   in Loop: Header=BB1_90 Depth=1
	s_cmp_lg_u32 s101, 0x54
	s_cbranch_scc0 .LBB1_284
; %bb.283:                              ;   in Loop: Header=BB1_90 Depth=1
	v_mov_b32_e32 v31, v40
	s_get_pc_i64 s[0:1]
	s_add_nc_u64 s[0:1], s[0:1], _Z54ncclDevFunc_ReduceScatter_RING_LL_PreMulSum_bf16_0_0_2v@rel64+4
	s_mov_b64 s[4:5], s[48:49]
	s_mov_b64 s[6:7], s[38:39]
	;; [unrolled: 1-line block ×4, first 2 shown]
	s_swap_pc_i64 s[30:31], s[0:1]
	s_mov_b32 s0, 0
.LBB1_284:                              ;   in Loop: Header=BB1_90 Depth=1
	s_delay_alu instid0(SALU_CYCLE_1)
	s_and_not1_b32 vcc_lo, exec_lo, s0
	s_cbranch_vccnz .LBB1_286
; %bb.285:                              ;   in Loop: Header=BB1_90 Depth=1
	v_mov_b32_e32 v31, v40
	s_get_pc_i64 s[0:1]
	s_add_nc_u64 s[0:1], s[0:1], _Z53ncclDevFunc_ReduceScatter_RING_LL_PreMulSum_f64_0_0_2v@rel64+4
	s_mov_b64 s[4:5], s[48:49]
	s_mov_b64 s[6:7], s[38:39]
	;; [unrolled: 1-line block ×4, first 2 shown]
	s_swap_pc_i64 s[30:31], s[0:1]
.LBB1_286:                              ;   in Loop: Header=BB1_90 Depth=1
	s_mov_b32 s0, 0
.LBB1_287:                              ;   in Loop: Header=BB1_90 Depth=1
	s_delay_alu instid0(SALU_CYCLE_1)
	s_and_not1_b32 vcc_lo, exec_lo, s0
	s_cbranch_vccnz .LBB1_289
; %bb.288:                              ;   in Loop: Header=BB1_90 Depth=1
	v_mov_b32_e32 v31, v40
	s_get_pc_i64 s[0:1]
	s_add_nc_u64 s[0:1], s[0:1], _Z53ncclDevFunc_ReduceScatter_RING_LL_PreMulSum_f32_0_0_2v@rel64+4
	s_mov_b64 s[4:5], s[48:49]
	s_mov_b64 s[6:7], s[38:39]
	s_mov_b64 s[8:9], s[50:51]
	s_mov_b64 s[10:11], s[34:35]
	s_swap_pc_i64 s[30:31], s[0:1]
.LBB1_289:                              ;   in Loop: Header=BB1_90 Depth=1
	s_mov_b32 s0, 0
.LBB1_290:                              ;   in Loop: Header=BB1_90 Depth=1
	s_delay_alu instid0(SALU_CYCLE_1)
	s_and_not1_b32 vcc_lo, exec_lo, s0
	s_cbranch_vccnz .LBB1_310
; %bb.291:                              ;   in Loop: Header=BB1_90 Depth=1
	s_cmp_gt_u32 s101, 0x4f
	s_mov_b32 s0, -1
	s_cbranch_scc0 .LBB1_301
; %bb.292:                              ;   in Loop: Header=BB1_90 Depth=1
	s_sext_i32_i16 s0, s100
	s_delay_alu instid0(SALU_CYCLE_1)
	s_cmp_lt_i32 s0, 0x51
	s_mov_b32 s0, -1
	s_cbranch_scc1 .LBB1_298
; %bb.293:                              ;   in Loop: Header=BB1_90 Depth=1
	s_cmp_lg_u32 s101, 0x51
	s_cbranch_scc0 .LBB1_295
; %bb.294:                              ;   in Loop: Header=BB1_90 Depth=1
	v_mov_b32_e32 v31, v40
	s_get_pc_i64 s[0:1]
	s_add_nc_u64 s[0:1], s[0:1], _Z53ncclDevFunc_ReduceScatter_RING_LL_PreMulSum_f16_0_0_2v@rel64+4
	s_mov_b64 s[4:5], s[48:49]
	s_mov_b64 s[6:7], s[38:39]
	;; [unrolled: 1-line block ×4, first 2 shown]
	s_swap_pc_i64 s[30:31], s[0:1]
	s_mov_b32 s0, 0
.LBB1_295:                              ;   in Loop: Header=BB1_90 Depth=1
	s_delay_alu instid0(SALU_CYCLE_1)
	s_and_not1_b32 vcc_lo, exec_lo, s0
	s_cbranch_vccnz .LBB1_297
; %bb.296:                              ;   in Loop: Header=BB1_90 Depth=1
	v_mov_b32_e32 v31, v40
	s_get_pc_i64 s[0:1]
	s_add_nc_u64 s[0:1], s[0:1], _Z53ncclDevFunc_ReduceScatter_RING_LL_PreMulSum_u64_0_0_2v@rel64+4
	s_mov_b64 s[4:5], s[48:49]
	s_mov_b64 s[6:7], s[38:39]
	;; [unrolled: 1-line block ×4, first 2 shown]
	s_swap_pc_i64 s[30:31], s[0:1]
.LBB1_297:                              ;   in Loop: Header=BB1_90 Depth=1
	s_mov_b32 s0, 0
.LBB1_298:                              ;   in Loop: Header=BB1_90 Depth=1
	s_delay_alu instid0(SALU_CYCLE_1)
	s_and_not1_b32 vcc_lo, exec_lo, s0
	s_cbranch_vccnz .LBB1_300
; %bb.299:                              ;   in Loop: Header=BB1_90 Depth=1
	v_mov_b32_e32 v31, v40
	s_get_pc_i64 s[0:1]
	s_add_nc_u64 s[0:1], s[0:1], _Z53ncclDevFunc_ReduceScatter_RING_LL_PreMulSum_u32_0_0_2v@rel64+4
	s_mov_b64 s[4:5], s[48:49]
	s_mov_b64 s[6:7], s[38:39]
	;; [unrolled: 1-line block ×4, first 2 shown]
	s_swap_pc_i64 s[30:31], s[0:1]
.LBB1_300:                              ;   in Loop: Header=BB1_90 Depth=1
	s_mov_b32 s0, 0
.LBB1_301:                              ;   in Loop: Header=BB1_90 Depth=1
	s_delay_alu instid0(SALU_CYCLE_1)
	s_and_b32 vcc_lo, exec_lo, s0
	s_cbranch_vccz .LBB1_310
; %bb.302:                              ;   in Loop: Header=BB1_90 Depth=1
	s_sext_i32_i16 s0, s100
	s_delay_alu instid0(SALU_CYCLE_1)
	s_cmp_lt_i32 s0, 0x4e
	s_mov_b32 s0, -1
	s_cbranch_scc1 .LBB1_308
; %bb.303:                              ;   in Loop: Header=BB1_90 Depth=1
	s_cmp_lg_u32 s101, 0x4e
	s_cbranch_scc0 .LBB1_305
; %bb.304:                              ;   in Loop: Header=BB1_90 Depth=1
	v_mov_b32_e32 v31, v40
	s_get_pc_i64 s[0:1]
	s_add_nc_u64 s[0:1], s[0:1], _Z52ncclDevFunc_ReduceScatter_RING_LL_PreMulSum_u8_0_0_2v@rel64+4
	s_mov_b64 s[4:5], s[48:49]
	s_mov_b64 s[6:7], s[38:39]
	s_mov_b64 s[8:9], s[50:51]
	s_mov_b64 s[10:11], s[34:35]
	s_swap_pc_i64 s[30:31], s[0:1]
	s_mov_b32 s0, 0
.LBB1_305:                              ;   in Loop: Header=BB1_90 Depth=1
	s_delay_alu instid0(SALU_CYCLE_1)
	s_and_not1_b32 vcc_lo, exec_lo, s0
	s_cbranch_vccnz .LBB1_307
; %bb.306:                              ;   in Loop: Header=BB1_90 Depth=1
	v_mov_b32_e32 v31, v40
	s_get_pc_i64 s[0:1]
	s_add_nc_u64 s[0:1], s[0:1], _Z53ncclDevFunc_ReduceScatter_RING_LL_MinMax_f8e5m2_0_0_2v@rel64+4
	s_mov_b64 s[4:5], s[48:49]
	s_mov_b64 s[6:7], s[38:39]
	s_mov_b64 s[8:9], s[50:51]
	s_mov_b64 s[10:11], s[34:35]
	s_swap_pc_i64 s[30:31], s[0:1]
.LBB1_307:                              ;   in Loop: Header=BB1_90 Depth=1
	s_mov_b32 s0, 0
.LBB1_308:                              ;   in Loop: Header=BB1_90 Depth=1
	s_delay_alu instid0(SALU_CYCLE_1)
	s_and_not1_b32 vcc_lo, exec_lo, s0
	s_cbranch_vccnz .LBB1_310
; %bb.309:                              ;   in Loop: Header=BB1_90 Depth=1
	v_mov_b32_e32 v31, v40
	s_get_pc_i64 s[0:1]
	s_add_nc_u64 s[0:1], s[0:1], _Z53ncclDevFunc_ReduceScatter_RING_LL_MinMax_f8e4m3_0_0_2v@rel64+4
	s_mov_b64 s[4:5], s[48:49]
	s_mov_b64 s[6:7], s[38:39]
	;; [unrolled: 1-line block ×4, first 2 shown]
	s_swap_pc_i64 s[30:31], s[0:1]
.LBB1_310:                              ;   in Loop: Header=BB1_90 Depth=1
	s_mov_b32 s0, 0
.LBB1_311:                              ;   in Loop: Header=BB1_90 Depth=1
	s_delay_alu instid0(SALU_CYCLE_1)
	s_and_not1_b32 vcc_lo, exec_lo, s0
	s_cbranch_vccnz .LBB1_349
; %bb.312:                              ;   in Loop: Header=BB1_90 Depth=1
	s_cmp_gt_u32 s101, 0x46
	s_mov_b32 s0, -1
	s_cbranch_scc0 .LBB1_333
; %bb.313:                              ;   in Loop: Header=BB1_90 Depth=1
	s_cmp_gt_u32 s101, 0x49
	s_cbranch_scc0 .LBB1_323
; %bb.314:                              ;   in Loop: Header=BB1_90 Depth=1
	s_sext_i32_i16 s0, s100
	s_delay_alu instid0(SALU_CYCLE_1)
	s_cmp_lt_i32 s0, 0x4b
	s_mov_b32 s0, -1
	s_cbranch_scc1 .LBB1_320
; %bb.315:                              ;   in Loop: Header=BB1_90 Depth=1
	s_cmp_lg_u32 s101, 0x4b
	s_cbranch_scc0 .LBB1_317
; %bb.316:                              ;   in Loop: Header=BB1_90 Depth=1
	v_mov_b32_e32 v31, v40
	s_get_pc_i64 s[0:1]
	s_add_nc_u64 s[0:1], s[0:1], _Z51ncclDevFunc_ReduceScatter_RING_LL_MinMax_bf16_0_0_2v@rel64+4
	s_mov_b64 s[4:5], s[48:49]
	s_mov_b64 s[6:7], s[38:39]
	;; [unrolled: 1-line block ×4, first 2 shown]
	s_swap_pc_i64 s[30:31], s[0:1]
	s_mov_b32 s0, 0
.LBB1_317:                              ;   in Loop: Header=BB1_90 Depth=1
	s_delay_alu instid0(SALU_CYCLE_1)
	s_and_not1_b32 vcc_lo, exec_lo, s0
	s_cbranch_vccnz .LBB1_319
; %bb.318:                              ;   in Loop: Header=BB1_90 Depth=1
	v_mov_b32_e32 v31, v40
	s_get_pc_i64 s[0:1]
	s_add_nc_u64 s[0:1], s[0:1], _Z50ncclDevFunc_ReduceScatter_RING_LL_MinMax_f64_0_0_2v@rel64+4
	s_mov_b64 s[4:5], s[48:49]
	s_mov_b64 s[6:7], s[38:39]
	;; [unrolled: 1-line block ×4, first 2 shown]
	s_swap_pc_i64 s[30:31], s[0:1]
.LBB1_319:                              ;   in Loop: Header=BB1_90 Depth=1
	s_mov_b32 s0, 0
.LBB1_320:                              ;   in Loop: Header=BB1_90 Depth=1
	s_delay_alu instid0(SALU_CYCLE_1)
	s_and_not1_b32 vcc_lo, exec_lo, s0
	s_cbranch_vccnz .LBB1_322
; %bb.321:                              ;   in Loop: Header=BB1_90 Depth=1
	v_mov_b32_e32 v31, v40
	s_get_pc_i64 s[0:1]
	s_add_nc_u64 s[0:1], s[0:1], _Z50ncclDevFunc_ReduceScatter_RING_LL_MinMax_f32_0_0_2v@rel64+4
	s_mov_b64 s[4:5], s[48:49]
	s_mov_b64 s[6:7], s[38:39]
	;; [unrolled: 1-line block ×4, first 2 shown]
	s_swap_pc_i64 s[30:31], s[0:1]
.LBB1_322:                              ;   in Loop: Header=BB1_90 Depth=1
	s_mov_b32 s0, 0
.LBB1_323:                              ;   in Loop: Header=BB1_90 Depth=1
	s_delay_alu instid0(SALU_CYCLE_1)
	s_and_b32 vcc_lo, exec_lo, s0
	s_cbranch_vccz .LBB1_332
; %bb.324:                              ;   in Loop: Header=BB1_90 Depth=1
	s_sext_i32_i16 s0, s100
	s_delay_alu instid0(SALU_CYCLE_1)
	s_cmp_lt_i32 s0, 0x48
	s_mov_b32 s0, -1
	s_cbranch_scc1 .LBB1_330
; %bb.325:                              ;   in Loop: Header=BB1_90 Depth=1
	s_cmp_lg_u32 s101, 0x48
	s_cbranch_scc0 .LBB1_327
; %bb.326:                              ;   in Loop: Header=BB1_90 Depth=1
	v_mov_b32_e32 v31, v40
	s_get_pc_i64 s[0:1]
	s_add_nc_u64 s[0:1], s[0:1], _Z50ncclDevFunc_ReduceScatter_RING_LL_MinMax_f16_0_0_2v@rel64+4
	s_mov_b64 s[4:5], s[48:49]
	s_mov_b64 s[6:7], s[38:39]
	;; [unrolled: 1-line block ×4, first 2 shown]
	s_swap_pc_i64 s[30:31], s[0:1]
	s_mov_b32 s0, 0
.LBB1_327:                              ;   in Loop: Header=BB1_90 Depth=1
	s_delay_alu instid0(SALU_CYCLE_1)
	s_and_not1_b32 vcc_lo, exec_lo, s0
	s_cbranch_vccnz .LBB1_329
; %bb.328:                              ;   in Loop: Header=BB1_90 Depth=1
	v_mov_b32_e32 v31, v40
	s_get_pc_i64 s[0:1]
	s_add_nc_u64 s[0:1], s[0:1], _Z50ncclDevFunc_ReduceScatter_RING_LL_MinMax_u64_0_0_2v@rel64+4
	s_mov_b64 s[4:5], s[48:49]
	s_mov_b64 s[6:7], s[38:39]
	;; [unrolled: 1-line block ×4, first 2 shown]
	s_swap_pc_i64 s[30:31], s[0:1]
.LBB1_329:                              ;   in Loop: Header=BB1_90 Depth=1
	s_mov_b32 s0, 0
.LBB1_330:                              ;   in Loop: Header=BB1_90 Depth=1
	s_delay_alu instid0(SALU_CYCLE_1)
	s_and_not1_b32 vcc_lo, exec_lo, s0
	s_cbranch_vccnz .LBB1_332
; %bb.331:                              ;   in Loop: Header=BB1_90 Depth=1
	v_mov_b32_e32 v31, v40
	s_get_pc_i64 s[0:1]
	s_add_nc_u64 s[0:1], s[0:1], _Z50ncclDevFunc_ReduceScatter_RING_LL_MinMax_u32_0_0_2v@rel64+4
	s_mov_b64 s[4:5], s[48:49]
	s_mov_b64 s[6:7], s[38:39]
	;; [unrolled: 1-line block ×4, first 2 shown]
	s_swap_pc_i64 s[30:31], s[0:1]
.LBB1_332:                              ;   in Loop: Header=BB1_90 Depth=1
	s_mov_b32 s0, 0
.LBB1_333:                              ;   in Loop: Header=BB1_90 Depth=1
	s_delay_alu instid0(SALU_CYCLE_1)
	s_and_not1_b32 vcc_lo, exec_lo, s0
	s_cbranch_vccnz .LBB1_349
; %bb.334:                              ;   in Loop: Header=BB1_90 Depth=1
	s_cmp_gt_u32 s101, 0x43
	s_mov_b32 s0, -1
	s_cbranch_scc0 .LBB1_344
; %bb.335:                              ;   in Loop: Header=BB1_90 Depth=1
	s_sext_i32_i16 s0, s100
	s_delay_alu instid0(SALU_CYCLE_1)
	s_cmp_lt_i32 s0, 0x45
	s_mov_b32 s0, -1
	s_cbranch_scc1 .LBB1_341
; %bb.336:                              ;   in Loop: Header=BB1_90 Depth=1
	s_cmp_lg_u32 s101, 0x45
	s_cbranch_scc0 .LBB1_338
; %bb.337:                              ;   in Loop: Header=BB1_90 Depth=1
	v_mov_b32_e32 v31, v40
	s_get_pc_i64 s[0:1]
	s_add_nc_u64 s[0:1], s[0:1], _Z49ncclDevFunc_ReduceScatter_RING_LL_MinMax_u8_0_0_2v@rel64+4
	s_mov_b64 s[4:5], s[48:49]
	s_mov_b64 s[6:7], s[38:39]
	;; [unrolled: 1-line block ×4, first 2 shown]
	s_swap_pc_i64 s[30:31], s[0:1]
	s_mov_b32 s0, 0
.LBB1_338:                              ;   in Loop: Header=BB1_90 Depth=1
	s_delay_alu instid0(SALU_CYCLE_1)
	s_and_not1_b32 vcc_lo, exec_lo, s0
	s_cbranch_vccnz .LBB1_340
; %bb.339:                              ;   in Loop: Header=BB1_90 Depth=1
	v_mov_b32_e32 v31, v40
	s_get_pc_i64 s[0:1]
	s_add_nc_u64 s[0:1], s[0:1], _Z51ncclDevFunc_ReduceScatter_RING_LL_Prod_f8e5m2_0_0_2v@rel64+4
	s_mov_b64 s[4:5], s[48:49]
	s_mov_b64 s[6:7], s[38:39]
	;; [unrolled: 1-line block ×4, first 2 shown]
	s_swap_pc_i64 s[30:31], s[0:1]
.LBB1_340:                              ;   in Loop: Header=BB1_90 Depth=1
	s_mov_b32 s0, 0
.LBB1_341:                              ;   in Loop: Header=BB1_90 Depth=1
	s_delay_alu instid0(SALU_CYCLE_1)
	s_and_not1_b32 vcc_lo, exec_lo, s0
	s_cbranch_vccnz .LBB1_343
; %bb.342:                              ;   in Loop: Header=BB1_90 Depth=1
	v_mov_b32_e32 v31, v40
	s_get_pc_i64 s[0:1]
	s_add_nc_u64 s[0:1], s[0:1], _Z51ncclDevFunc_ReduceScatter_RING_LL_Prod_f8e4m3_0_0_2v@rel64+4
	s_mov_b64 s[4:5], s[48:49]
	s_mov_b64 s[6:7], s[38:39]
	;; [unrolled: 1-line block ×4, first 2 shown]
	s_swap_pc_i64 s[30:31], s[0:1]
.LBB1_343:                              ;   in Loop: Header=BB1_90 Depth=1
	s_mov_b32 s0, 0
.LBB1_344:                              ;   in Loop: Header=BB1_90 Depth=1
	s_delay_alu instid0(SALU_CYCLE_1)
	s_and_b32 vcc_lo, exec_lo, s0
	s_cbranch_vccz .LBB1_349
; %bb.345:                              ;   in Loop: Header=BB1_90 Depth=1
	s_cmp_eq_u32 s101, 0x43
	s_mov_b32 s0, -1
	s_cbranch_scc1 .LBB1_347
; %bb.346:                              ;   in Loop: Header=BB1_90 Depth=1
	v_mov_b32_e32 v31, v40
	s_get_pc_i64 s[0:1]
	s_add_nc_u64 s[0:1], s[0:1], _Z48ncclDevFunc_ReduceScatter_RING_LL_Prod_f64_0_0_2v@rel64+4
	s_mov_b64 s[4:5], s[48:49]
	s_mov_b64 s[6:7], s[38:39]
	;; [unrolled: 1-line block ×4, first 2 shown]
	s_swap_pc_i64 s[30:31], s[0:1]
	s_mov_b32 s0, 0
.LBB1_347:                              ;   in Loop: Header=BB1_90 Depth=1
	s_delay_alu instid0(SALU_CYCLE_1)
	s_and_not1_b32 vcc_lo, exec_lo, s0
	s_cbranch_vccnz .LBB1_349
; %bb.348:                              ;   in Loop: Header=BB1_90 Depth=1
	v_mov_b32_e32 v31, v40
	s_get_pc_i64 s[0:1]
	s_add_nc_u64 s[0:1], s[0:1], _Z49ncclDevFunc_ReduceScatter_RING_LL_Prod_bf16_0_0_2v@rel64+4
	s_mov_b64 s[4:5], s[48:49]
	s_mov_b64 s[6:7], s[38:39]
	;; [unrolled: 1-line block ×4, first 2 shown]
	s_swap_pc_i64 s[30:31], s[0:1]
.LBB1_349:                              ;   in Loop: Header=BB1_90 Depth=1
	s_mov_b32 s0, 0
.LBB1_350:                              ;   in Loop: Header=BB1_90 Depth=1
	s_delay_alu instid0(SALU_CYCLE_1)
	s_and_not1_b32 vcc_lo, exec_lo, s0
	s_cbranch_vccnz .LBB1_420
; %bb.351:                              ;   in Loop: Header=BB1_90 Depth=1
	s_cmp_gt_u32 s101, 54
	s_mov_b32 s0, -1
	s_cbranch_scc0 .LBB1_390
; %bb.352:                              ;   in Loop: Header=BB1_90 Depth=1
	s_cmp_gt_u32 s101, 59
	s_cbranch_scc0 .LBB1_373
; %bb.353:                              ;   in Loop: Header=BB1_90 Depth=1
	s_cmp_gt_u32 s101, 62
	s_cbranch_scc0 .LBB1_363
; %bb.354:                              ;   in Loop: Header=BB1_90 Depth=1
	s_sext_i32_i16 s0, s100
	s_delay_alu instid0(SALU_CYCLE_1)
	s_cmp_lt_i32 s0, 64
	s_mov_b32 s0, -1
	s_cbranch_scc1 .LBB1_360
; %bb.355:                              ;   in Loop: Header=BB1_90 Depth=1
	s_cmp_lg_u32 s101, 64
	s_cbranch_scc0 .LBB1_357
; %bb.356:                              ;   in Loop: Header=BB1_90 Depth=1
	v_mov_b32_e32 v31, v40
	s_get_pc_i64 s[0:1]
	s_add_nc_u64 s[0:1], s[0:1], _Z48ncclDevFunc_ReduceScatter_RING_LL_Prod_f32_0_0_2v@rel64+4
	s_mov_b64 s[4:5], s[48:49]
	s_mov_b64 s[6:7], s[38:39]
	;; [unrolled: 1-line block ×4, first 2 shown]
	s_swap_pc_i64 s[30:31], s[0:1]
	s_mov_b32 s0, 0
.LBB1_357:                              ;   in Loop: Header=BB1_90 Depth=1
	s_delay_alu instid0(SALU_CYCLE_1)
	s_and_not1_b32 vcc_lo, exec_lo, s0
	s_cbranch_vccnz .LBB1_359
; %bb.358:                              ;   in Loop: Header=BB1_90 Depth=1
	v_mov_b32_e32 v31, v40
	s_get_pc_i64 s[0:1]
	s_add_nc_u64 s[0:1], s[0:1], _Z48ncclDevFunc_ReduceScatter_RING_LL_Prod_f16_0_0_2v@rel64+4
	s_mov_b64 s[4:5], s[48:49]
	s_mov_b64 s[6:7], s[38:39]
	s_mov_b64 s[8:9], s[50:51]
	s_mov_b64 s[10:11], s[34:35]
	s_swap_pc_i64 s[30:31], s[0:1]
.LBB1_359:                              ;   in Loop: Header=BB1_90 Depth=1
	s_mov_b32 s0, 0
.LBB1_360:                              ;   in Loop: Header=BB1_90 Depth=1
	s_delay_alu instid0(SALU_CYCLE_1)
	s_and_not1_b32 vcc_lo, exec_lo, s0
	s_cbranch_vccnz .LBB1_362
; %bb.361:                              ;   in Loop: Header=BB1_90 Depth=1
	v_mov_b32_e32 v31, v40
	s_get_pc_i64 s[0:1]
	s_add_nc_u64 s[0:1], s[0:1], _Z48ncclDevFunc_ReduceScatter_RING_LL_Prod_u64_0_0_2v@rel64+4
	s_mov_b64 s[4:5], s[48:49]
	s_mov_b64 s[6:7], s[38:39]
	;; [unrolled: 1-line block ×4, first 2 shown]
	s_swap_pc_i64 s[30:31], s[0:1]
.LBB1_362:                              ;   in Loop: Header=BB1_90 Depth=1
	s_mov_b32 s0, 0
.LBB1_363:                              ;   in Loop: Header=BB1_90 Depth=1
	s_delay_alu instid0(SALU_CYCLE_1)
	s_and_b32 vcc_lo, exec_lo, s0
	s_cbranch_vccz .LBB1_372
; %bb.364:                              ;   in Loop: Header=BB1_90 Depth=1
	s_sext_i32_i16 s0, s100
	s_delay_alu instid0(SALU_CYCLE_1)
	s_cmp_lt_i32 s0, 61
	s_mov_b32 s0, -1
	s_cbranch_scc1 .LBB1_370
; %bb.365:                              ;   in Loop: Header=BB1_90 Depth=1
	s_cmp_lg_u32 s101, 61
	s_cbranch_scc0 .LBB1_367
; %bb.366:                              ;   in Loop: Header=BB1_90 Depth=1
	v_mov_b32_e32 v31, v40
	s_get_pc_i64 s[0:1]
	s_add_nc_u64 s[0:1], s[0:1], _Z48ncclDevFunc_ReduceScatter_RING_LL_Prod_u32_0_0_2v@rel64+4
	s_mov_b64 s[4:5], s[48:49]
	s_mov_b64 s[6:7], s[38:39]
	;; [unrolled: 1-line block ×4, first 2 shown]
	s_swap_pc_i64 s[30:31], s[0:1]
	s_mov_b32 s0, 0
.LBB1_367:                              ;   in Loop: Header=BB1_90 Depth=1
	s_delay_alu instid0(SALU_CYCLE_1)
	s_and_not1_b32 vcc_lo, exec_lo, s0
	s_cbranch_vccnz .LBB1_369
; %bb.368:                              ;   in Loop: Header=BB1_90 Depth=1
	v_mov_b32_e32 v31, v40
	s_get_pc_i64 s[0:1]
	s_add_nc_u64 s[0:1], s[0:1], _Z47ncclDevFunc_ReduceScatter_RING_LL_Prod_u8_0_0_2v@rel64+4
	s_mov_b64 s[4:5], s[48:49]
	s_mov_b64 s[6:7], s[38:39]
	;; [unrolled: 1-line block ×4, first 2 shown]
	s_swap_pc_i64 s[30:31], s[0:1]
.LBB1_369:                              ;   in Loop: Header=BB1_90 Depth=1
	s_mov_b32 s0, 0
.LBB1_370:                              ;   in Loop: Header=BB1_90 Depth=1
	s_delay_alu instid0(SALU_CYCLE_1)
	s_and_not1_b32 vcc_lo, exec_lo, s0
	s_cbranch_vccnz .LBB1_372
; %bb.371:                              ;   in Loop: Header=BB1_90 Depth=1
	v_mov_b32_e32 v31, v40
	s_get_pc_i64 s[0:1]
	s_add_nc_u64 s[0:1], s[0:1], _Z50ncclDevFunc_ReduceScatter_RING_LL_Sum_f8e5m2_0_0_2v@rel64+4
	s_mov_b64 s[4:5], s[48:49]
	s_mov_b64 s[6:7], s[38:39]
	;; [unrolled: 1-line block ×4, first 2 shown]
	s_swap_pc_i64 s[30:31], s[0:1]
.LBB1_372:                              ;   in Loop: Header=BB1_90 Depth=1
	s_mov_b32 s0, 0
.LBB1_373:                              ;   in Loop: Header=BB1_90 Depth=1
	s_delay_alu instid0(SALU_CYCLE_1)
	s_and_not1_b32 vcc_lo, exec_lo, s0
	s_cbranch_vccnz .LBB1_389
; %bb.374:                              ;   in Loop: Header=BB1_90 Depth=1
	s_cmp_gt_u32 s101, 56
	s_mov_b32 s0, -1
	s_cbranch_scc0 .LBB1_384
; %bb.375:                              ;   in Loop: Header=BB1_90 Depth=1
	s_sext_i32_i16 s0, s100
	s_delay_alu instid0(SALU_CYCLE_1)
	s_cmp_lt_i32 s0, 58
	s_mov_b32 s0, -1
	s_cbranch_scc1 .LBB1_381
; %bb.376:                              ;   in Loop: Header=BB1_90 Depth=1
	s_cmp_lg_u32 s101, 58
	s_cbranch_scc0 .LBB1_378
; %bb.377:                              ;   in Loop: Header=BB1_90 Depth=1
	v_mov_b32_e32 v31, v40
	s_get_pc_i64 s[0:1]
	s_add_nc_u64 s[0:1], s[0:1], _Z50ncclDevFunc_ReduceScatter_RING_LL_Sum_f8e4m3_0_0_2v@rel64+4
	s_mov_b64 s[4:5], s[48:49]
	s_mov_b64 s[6:7], s[38:39]
	;; [unrolled: 1-line block ×4, first 2 shown]
	s_swap_pc_i64 s[30:31], s[0:1]
	s_mov_b32 s0, 0
.LBB1_378:                              ;   in Loop: Header=BB1_90 Depth=1
	s_delay_alu instid0(SALU_CYCLE_1)
	s_and_not1_b32 vcc_lo, exec_lo, s0
	s_cbranch_vccnz .LBB1_380
; %bb.379:                              ;   in Loop: Header=BB1_90 Depth=1
	v_mov_b32_e32 v31, v40
	s_get_pc_i64 s[0:1]
	s_add_nc_u64 s[0:1], s[0:1], _Z48ncclDevFunc_ReduceScatter_RING_LL_Sum_bf16_0_0_2v@rel64+4
	s_mov_b64 s[4:5], s[48:49]
	s_mov_b64 s[6:7], s[38:39]
	;; [unrolled: 1-line block ×4, first 2 shown]
	s_swap_pc_i64 s[30:31], s[0:1]
.LBB1_380:                              ;   in Loop: Header=BB1_90 Depth=1
	s_mov_b32 s0, 0
.LBB1_381:                              ;   in Loop: Header=BB1_90 Depth=1
	s_delay_alu instid0(SALU_CYCLE_1)
	s_and_not1_b32 vcc_lo, exec_lo, s0
	s_cbranch_vccnz .LBB1_383
; %bb.382:                              ;   in Loop: Header=BB1_90 Depth=1
	v_mov_b32_e32 v31, v40
	s_get_pc_i64 s[0:1]
	s_add_nc_u64 s[0:1], s[0:1], _Z47ncclDevFunc_ReduceScatter_RING_LL_Sum_f64_0_0_2v@rel64+4
	s_mov_b64 s[4:5], s[48:49]
	s_mov_b64 s[6:7], s[38:39]
	;; [unrolled: 1-line block ×4, first 2 shown]
	s_swap_pc_i64 s[30:31], s[0:1]
.LBB1_383:                              ;   in Loop: Header=BB1_90 Depth=1
	s_mov_b32 s0, 0
.LBB1_384:                              ;   in Loop: Header=BB1_90 Depth=1
	s_delay_alu instid0(SALU_CYCLE_1)
	s_and_b32 vcc_lo, exec_lo, s0
	s_cbranch_vccz .LBB1_389
; %bb.385:                              ;   in Loop: Header=BB1_90 Depth=1
	s_cmp_eq_u32 s101, 56
	s_mov_b32 s0, -1
	s_cbranch_scc1 .LBB1_387
; %bb.386:                              ;   in Loop: Header=BB1_90 Depth=1
	v_mov_b32_e32 v31, v40
	s_get_pc_i64 s[0:1]
	s_add_nc_u64 s[0:1], s[0:1], _Z47ncclDevFunc_ReduceScatter_RING_LL_Sum_f16_0_0_2v@rel64+4
	s_mov_b64 s[4:5], s[48:49]
	s_mov_b64 s[6:7], s[38:39]
	;; [unrolled: 1-line block ×4, first 2 shown]
	s_swap_pc_i64 s[30:31], s[0:1]
	s_mov_b32 s0, 0
.LBB1_387:                              ;   in Loop: Header=BB1_90 Depth=1
	s_delay_alu instid0(SALU_CYCLE_1)
	s_and_not1_b32 vcc_lo, exec_lo, s0
	s_cbranch_vccnz .LBB1_389
; %bb.388:                              ;   in Loop: Header=BB1_90 Depth=1
	v_mov_b32_e32 v31, v40
	s_get_pc_i64 s[0:1]
	s_add_nc_u64 s[0:1], s[0:1], _Z47ncclDevFunc_ReduceScatter_RING_LL_Sum_f32_0_0_2v@rel64+4
	s_mov_b64 s[4:5], s[48:49]
	s_mov_b64 s[6:7], s[38:39]
	;; [unrolled: 1-line block ×4, first 2 shown]
	s_swap_pc_i64 s[30:31], s[0:1]
.LBB1_389:                              ;   in Loop: Header=BB1_90 Depth=1
	s_mov_b32 s0, 0
.LBB1_390:                              ;   in Loop: Header=BB1_90 Depth=1
	s_delay_alu instid0(SALU_CYCLE_1)
	s_and_not1_b32 vcc_lo, exec_lo, s0
	s_cbranch_vccnz .LBB1_420
; %bb.391:                              ;   in Loop: Header=BB1_90 Depth=1
	s_cmp_gt_u32 s101, 48
	s_mov_b32 s0, -1
	s_cbranch_scc0 .LBB1_408
; %bb.392:                              ;   in Loop: Header=BB1_90 Depth=1
	s_cmp_gt_u32 s101, 51
	s_cbranch_scc0 .LBB1_402
; %bb.393:                              ;   in Loop: Header=BB1_90 Depth=1
	s_sext_i32_i16 s0, s100
	s_delay_alu instid0(SALU_CYCLE_1)
	s_cmp_lt_i32 s0, 53
	s_mov_b32 s0, -1
	s_cbranch_scc1 .LBB1_399
; %bb.394:                              ;   in Loop: Header=BB1_90 Depth=1
	s_cmp_lg_u32 s101, 53
	s_cbranch_scc0 .LBB1_396
; %bb.395:                              ;   in Loop: Header=BB1_90 Depth=1
	v_mov_b32_e32 v31, v40
	s_get_pc_i64 s[0:1]
	s_add_nc_u64 s[0:1], s[0:1], _Z47ncclDevFunc_ReduceScatter_RING_LL_Sum_u64_0_0_2v@rel64+4
	s_mov_b64 s[4:5], s[48:49]
	s_mov_b64 s[6:7], s[38:39]
	;; [unrolled: 1-line block ×4, first 2 shown]
	s_swap_pc_i64 s[30:31], s[0:1]
	s_mov_b32 s0, 0
.LBB1_396:                              ;   in Loop: Header=BB1_90 Depth=1
	s_delay_alu instid0(SALU_CYCLE_1)
	s_and_not1_b32 vcc_lo, exec_lo, s0
	s_cbranch_vccnz .LBB1_398
; %bb.397:                              ;   in Loop: Header=BB1_90 Depth=1
	v_mov_b32_e32 v31, v40
	s_get_pc_i64 s[0:1]
	s_add_nc_u64 s[0:1], s[0:1], _Z47ncclDevFunc_ReduceScatter_RING_LL_Sum_u32_0_0_2v@rel64+4
	s_mov_b64 s[4:5], s[48:49]
	s_mov_b64 s[6:7], s[38:39]
	;; [unrolled: 1-line block ×4, first 2 shown]
	s_swap_pc_i64 s[30:31], s[0:1]
.LBB1_398:                              ;   in Loop: Header=BB1_90 Depth=1
	s_mov_b32 s0, 0
.LBB1_399:                              ;   in Loop: Header=BB1_90 Depth=1
	s_delay_alu instid0(SALU_CYCLE_1)
	s_and_not1_b32 vcc_lo, exec_lo, s0
	s_cbranch_vccnz .LBB1_401
; %bb.400:                              ;   in Loop: Header=BB1_90 Depth=1
	v_mov_b32_e32 v31, v40
	s_get_pc_i64 s[0:1]
	s_add_nc_u64 s[0:1], s[0:1], _Z46ncclDevFunc_ReduceScatter_RING_LL_Sum_u8_0_0_2v@rel64+4
	s_mov_b64 s[4:5], s[48:49]
	s_mov_b64 s[6:7], s[38:39]
	;; [unrolled: 1-line block ×4, first 2 shown]
	s_swap_pc_i64 s[30:31], s[0:1]
.LBB1_401:                              ;   in Loop: Header=BB1_90 Depth=1
	s_mov_b32 s0, 0
.LBB1_402:                              ;   in Loop: Header=BB1_90 Depth=1
	s_delay_alu instid0(SALU_CYCLE_1)
	s_and_b32 vcc_lo, exec_lo, s0
	s_cbranch_vccz .LBB1_407
; %bb.403:                              ;   in Loop: Header=BB1_90 Depth=1
	s_cmp_lg_u32 s101, 49
	s_mov_b32 s0, -1
	s_cbranch_scc0 .LBB1_405
; %bb.404:                              ;   in Loop: Header=BB1_90 Depth=1
	v_mov_b32_e32 v31, v40
	s_get_pc_i64 s[0:1]
	s_add_nc_u64 s[0:1], s[0:1], _Z45ncclDevFunc_AllGather_PAT_SIMPLE_Sum_i8_0_0_2v@rel64+4
	s_mov_b64 s[4:5], s[48:49]
	s_mov_b64 s[6:7], s[38:39]
	;; [unrolled: 1-line block ×4, first 2 shown]
	s_swap_pc_i64 s[30:31], s[0:1]
	s_mov_b32 s0, 0
.LBB1_405:                              ;   in Loop: Header=BB1_90 Depth=1
	s_delay_alu instid0(SALU_CYCLE_1)
	s_and_not1_b32 vcc_lo, exec_lo, s0
	s_cbranch_vccnz .LBB1_407
; %bb.406:                              ;   in Loop: Header=BB1_90 Depth=1
	v_mov_b32_e32 v31, v40
	s_get_pc_i64 s[0:1]
	s_add_nc_u64 s[0:1], s[0:1], _Z41ncclDevFunc_AllGather_PAT_LL_Sum_i8_0_0_2v@rel64+4
	s_mov_b64 s[4:5], s[48:49]
	s_mov_b64 s[6:7], s[38:39]
	;; [unrolled: 1-line block ×4, first 2 shown]
	s_swap_pc_i64 s[30:31], s[0:1]
.LBB1_407:                              ;   in Loop: Header=BB1_90 Depth=1
	s_mov_b32 s0, 0
.LBB1_408:                              ;   in Loop: Header=BB1_90 Depth=1
	s_delay_alu instid0(SALU_CYCLE_1)
	s_and_not1_b32 vcc_lo, exec_lo, s0
	s_cbranch_vccnz .LBB1_420
; %bb.409:                              ;   in Loop: Header=BB1_90 Depth=1
	s_cmp_gt_u32 s101, 45
	s_mov_b32 s0, -1
	s_cbranch_scc0 .LBB1_415
; %bb.410:                              ;   in Loop: Header=BB1_90 Depth=1
	s_cmp_lg_u32 s101, 46
	s_cbranch_scc0 .LBB1_412
; %bb.411:                              ;   in Loop: Header=BB1_90 Depth=1
	v_mov_b32_e32 v31, v40
	s_get_pc_i64 s[0:1]
	s_add_nc_u64 s[0:1], s[0:1], _Z46ncclDevFunc_AllGather_RING_SIMPLE_Sum_i8_0_0_2v@rel64+4
	s_mov_b64 s[4:5], s[48:49]
	s_mov_b64 s[6:7], s[38:39]
	;; [unrolled: 1-line block ×4, first 2 shown]
	s_swap_pc_i64 s[30:31], s[0:1]
	s_mov_b32 s0, 0
.LBB1_412:                              ;   in Loop: Header=BB1_90 Depth=1
	s_delay_alu instid0(SALU_CYCLE_1)
	s_and_not1_b32 vcc_lo, exec_lo, s0
	s_cbranch_vccnz .LBB1_414
; %bb.413:                              ;   in Loop: Header=BB1_90 Depth=1
	v_mov_b32_e32 v31, v40
	s_get_pc_i64 s[0:1]
	s_add_nc_u64 s[0:1], s[0:1], _Z42ncclDevFunc_AllGather_RING_LL_Sum_i8_0_0_2v@rel64+4
	s_mov_b64 s[4:5], s[48:49]
	s_mov_b64 s[6:7], s[38:39]
	;; [unrolled: 1-line block ×4, first 2 shown]
	s_swap_pc_i64 s[30:31], s[0:1]
.LBB1_414:                              ;   in Loop: Header=BB1_90 Depth=1
	s_mov_b32 s0, 0
.LBB1_415:                              ;   in Loop: Header=BB1_90 Depth=1
	s_delay_alu instid0(SALU_CYCLE_1)
	s_and_not1_b32 vcc_lo, exec_lo, s0
	s_cbranch_vccnz .LBB1_420
; %bb.416:                              ;   in Loop: Header=BB1_90 Depth=1
	s_cmp_eq_u32 s101, 45
	s_mov_b32 s0, -1
	s_cbranch_scc1 .LBB1_418
; %bb.417:                              ;   in Loop: Header=BB1_90 Depth=1
	v_mov_b32_e32 v31, v40
	s_get_pc_i64 s[0:1]
	s_add_nc_u64 s[0:1], s[0:1], _Z51ncclDevFunc_Reduce_RING_SIMPLE_SumPostDiv_u32_0_0_2v@rel64+4
	s_mov_b64 s[4:5], s[48:49]
	s_mov_b64 s[6:7], s[38:39]
	;; [unrolled: 1-line block ×4, first 2 shown]
	s_swap_pc_i64 s[30:31], s[0:1]
	s_mov_b32 s0, 0
.LBB1_418:                              ;   in Loop: Header=BB1_90 Depth=1
	s_delay_alu instid0(SALU_CYCLE_1)
	s_and_not1_b32 vcc_lo, exec_lo, s0
	s_cbranch_vccnz .LBB1_420
; %bb.419:                              ;   in Loop: Header=BB1_90 Depth=1
	v_mov_b32_e32 v31, v40
	s_get_pc_i64 s[0:1]
	s_add_nc_u64 s[0:1], s[0:1], _Z51ncclDevFunc_Reduce_RING_SIMPLE_SumPostDiv_u64_0_0_2v@rel64+4
	s_mov_b64 s[4:5], s[48:49]
	s_mov_b64 s[6:7], s[38:39]
	;; [unrolled: 1-line block ×4, first 2 shown]
	s_swap_pc_i64 s[30:31], s[0:1]
.LBB1_420:                              ;   in Loop: Header=BB1_90 Depth=1
	s_mov_b32 s0, 0
.LBB1_421:                              ;   in Loop: Header=BB1_90 Depth=1
	s_delay_alu instid0(SALU_CYCLE_1)
	s_and_not1_b32 vcc_lo, exec_lo, s0
	s_cbranch_vccnz .LBB1_576
; %bb.422:                              ;   in Loop: Header=BB1_90 Depth=1
	s_cmp_gt_u32 s101, 21
	s_mov_b32 s0, -1
	s_cbranch_scc0 .LBB1_501
; %bb.423:                              ;   in Loop: Header=BB1_90 Depth=1
	s_cmp_gt_u32 s101, 32
	s_cbranch_scc0 .LBB1_462
; %bb.424:                              ;   in Loop: Header=BB1_90 Depth=1
	s_cmp_gt_u32 s101, 37
	;; [unrolled: 3-line block ×3, first 2 shown]
	s_cbranch_scc0 .LBB1_435
; %bb.426:                              ;   in Loop: Header=BB1_90 Depth=1
	s_sext_i32_i16 s0, s100
	s_delay_alu instid0(SALU_CYCLE_1)
	s_cmp_lt_i32 s0, 42
	s_mov_b32 s0, -1
	s_cbranch_scc1 .LBB1_432
; %bb.427:                              ;   in Loop: Header=BB1_90 Depth=1
	s_cmp_lg_u32 s101, 42
	s_cbranch_scc0 .LBB1_429
; %bb.428:                              ;   in Loop: Header=BB1_90 Depth=1
	v_mov_b32_e32 v31, v40
	s_get_pc_i64 s[0:1]
	s_add_nc_u64 s[0:1], s[0:1], _Z50ncclDevFunc_Reduce_RING_SIMPLE_SumPostDiv_u8_0_0_2v@rel64+4
	s_mov_b64 s[4:5], s[48:49]
	s_mov_b64 s[6:7], s[38:39]
	;; [unrolled: 1-line block ×4, first 2 shown]
	s_swap_pc_i64 s[30:31], s[0:1]
	s_mov_b32 s0, 0
.LBB1_429:                              ;   in Loop: Header=BB1_90 Depth=1
	s_delay_alu instid0(SALU_CYCLE_1)
	s_and_not1_b32 vcc_lo, exec_lo, s0
	s_cbranch_vccnz .LBB1_431
; %bb.430:                              ;   in Loop: Header=BB1_90 Depth=1
	v_mov_b32_e32 v31, v40
	s_get_pc_i64 s[0:1]
	s_add_nc_u64 s[0:1], s[0:1], _Z53ncclDevFunc_Reduce_RING_SIMPLE_PreMulSum_f8e5m2_0_0_2v@rel64+4
	s_mov_b64 s[4:5], s[48:49]
	s_mov_b64 s[6:7], s[38:39]
	;; [unrolled: 1-line block ×4, first 2 shown]
	s_swap_pc_i64 s[30:31], s[0:1]
.LBB1_431:                              ;   in Loop: Header=BB1_90 Depth=1
	s_mov_b32 s0, 0
.LBB1_432:                              ;   in Loop: Header=BB1_90 Depth=1
	s_delay_alu instid0(SALU_CYCLE_1)
	s_and_not1_b32 vcc_lo, exec_lo, s0
	s_cbranch_vccnz .LBB1_434
; %bb.433:                              ;   in Loop: Header=BB1_90 Depth=1
	v_mov_b32_e32 v31, v40
	s_get_pc_i64 s[0:1]
	s_add_nc_u64 s[0:1], s[0:1], _Z53ncclDevFunc_Reduce_RING_SIMPLE_PreMulSum_f8e4m3_0_0_2v@rel64+4
	s_mov_b64 s[4:5], s[48:49]
	s_mov_b64 s[6:7], s[38:39]
	;; [unrolled: 1-line block ×4, first 2 shown]
	s_swap_pc_i64 s[30:31], s[0:1]
.LBB1_434:                              ;   in Loop: Header=BB1_90 Depth=1
	s_mov_b32 s0, 0
.LBB1_435:                              ;   in Loop: Header=BB1_90 Depth=1
	s_delay_alu instid0(SALU_CYCLE_1)
	s_and_b32 vcc_lo, exec_lo, s0
	s_cbranch_vccz .LBB1_444
; %bb.436:                              ;   in Loop: Header=BB1_90 Depth=1
	s_sext_i32_i16 s0, s100
	s_delay_alu instid0(SALU_CYCLE_1)
	s_cmp_lt_i32 s0, 39
	s_mov_b32 s0, -1
	s_cbranch_scc1 .LBB1_442
; %bb.437:                              ;   in Loop: Header=BB1_90 Depth=1
	s_cmp_lg_u32 s101, 39
	s_cbranch_scc0 .LBB1_439
; %bb.438:                              ;   in Loop: Header=BB1_90 Depth=1
	v_mov_b32_e32 v31, v40
	s_get_pc_i64 s[0:1]
	s_add_nc_u64 s[0:1], s[0:1], _Z51ncclDevFunc_Reduce_RING_SIMPLE_PreMulSum_bf16_0_1_2v@rel64+4
	s_mov_b64 s[4:5], s[48:49]
	s_mov_b64 s[6:7], s[38:39]
	;; [unrolled: 1-line block ×4, first 2 shown]
	s_swap_pc_i64 s[30:31], s[0:1]
	s_mov_b32 s0, 0
.LBB1_439:                              ;   in Loop: Header=BB1_90 Depth=1
	s_delay_alu instid0(SALU_CYCLE_1)
	s_and_not1_b32 vcc_lo, exec_lo, s0
	s_cbranch_vccnz .LBB1_441
; %bb.440:                              ;   in Loop: Header=BB1_90 Depth=1
	v_mov_b32_e32 v31, v40
	s_get_pc_i64 s[0:1]
	s_add_nc_u64 s[0:1], s[0:1], _Z51ncclDevFunc_Reduce_RING_SIMPLE_PreMulSum_bf16_0_0_2v@rel64+4
	s_mov_b64 s[4:5], s[48:49]
	s_mov_b64 s[6:7], s[38:39]
	;; [unrolled: 1-line block ×4, first 2 shown]
	s_swap_pc_i64 s[30:31], s[0:1]
.LBB1_441:                              ;   in Loop: Header=BB1_90 Depth=1
	s_mov_b32 s0, 0
.LBB1_442:                              ;   in Loop: Header=BB1_90 Depth=1
	s_delay_alu instid0(SALU_CYCLE_1)
	s_and_not1_b32 vcc_lo, exec_lo, s0
	s_cbranch_vccnz .LBB1_444
; %bb.443:                              ;   in Loop: Header=BB1_90 Depth=1
	v_mov_b32_e32 v31, v40
	s_get_pc_i64 s[0:1]
	s_add_nc_u64 s[0:1], s[0:1], _Z50ncclDevFunc_Reduce_RING_SIMPLE_PreMulSum_f64_0_0_2v@rel64+4
	s_mov_b64 s[4:5], s[48:49]
	s_mov_b64 s[6:7], s[38:39]
	;; [unrolled: 1-line block ×4, first 2 shown]
	s_swap_pc_i64 s[30:31], s[0:1]
.LBB1_444:                              ;   in Loop: Header=BB1_90 Depth=1
	s_mov_b32 s0, 0
.LBB1_445:                              ;   in Loop: Header=BB1_90 Depth=1
	s_delay_alu instid0(SALU_CYCLE_1)
	s_and_not1_b32 vcc_lo, exec_lo, s0
	s_cbranch_vccnz .LBB1_461
; %bb.446:                              ;   in Loop: Header=BB1_90 Depth=1
	s_cmp_gt_u32 s101, 34
	s_mov_b32 s0, -1
	s_cbranch_scc0 .LBB1_456
; %bb.447:                              ;   in Loop: Header=BB1_90 Depth=1
	s_sext_i32_i16 s0, s100
	s_delay_alu instid0(SALU_CYCLE_1)
	s_cmp_lt_i32 s0, 36
	s_mov_b32 s0, -1
	s_cbranch_scc1 .LBB1_453
; %bb.448:                              ;   in Loop: Header=BB1_90 Depth=1
	s_cmp_lg_u32 s101, 36
	s_cbranch_scc0 .LBB1_450
; %bb.449:                              ;   in Loop: Header=BB1_90 Depth=1
	v_mov_b32_e32 v31, v40
	s_get_pc_i64 s[0:1]
	s_add_nc_u64 s[0:1], s[0:1], _Z50ncclDevFunc_Reduce_RING_SIMPLE_PreMulSum_f32_0_0_2v@rel64+4
	s_mov_b64 s[4:5], s[48:49]
	s_mov_b64 s[6:7], s[38:39]
	;; [unrolled: 1-line block ×4, first 2 shown]
	s_swap_pc_i64 s[30:31], s[0:1]
	s_mov_b32 s0, 0
.LBB1_450:                              ;   in Loop: Header=BB1_90 Depth=1
	s_delay_alu instid0(SALU_CYCLE_1)
	s_and_not1_b32 vcc_lo, exec_lo, s0
	s_cbranch_vccnz .LBB1_452
; %bb.451:                              ;   in Loop: Header=BB1_90 Depth=1
	v_mov_b32_e32 v31, v40
	s_get_pc_i64 s[0:1]
	s_add_nc_u64 s[0:1], s[0:1], _Z50ncclDevFunc_Reduce_RING_SIMPLE_PreMulSum_f16_0_0_2v@rel64+4
	s_mov_b64 s[4:5], s[48:49]
	s_mov_b64 s[6:7], s[38:39]
	;; [unrolled: 1-line block ×4, first 2 shown]
	s_swap_pc_i64 s[30:31], s[0:1]
.LBB1_452:                              ;   in Loop: Header=BB1_90 Depth=1
	s_mov_b32 s0, 0
.LBB1_453:                              ;   in Loop: Header=BB1_90 Depth=1
	s_delay_alu instid0(SALU_CYCLE_1)
	s_and_not1_b32 vcc_lo, exec_lo, s0
	s_cbranch_vccnz .LBB1_455
; %bb.454:                              ;   in Loop: Header=BB1_90 Depth=1
	v_mov_b32_e32 v31, v40
	s_get_pc_i64 s[0:1]
	s_add_nc_u64 s[0:1], s[0:1], _Z50ncclDevFunc_Reduce_RING_SIMPLE_PreMulSum_u64_0_0_2v@rel64+4
	s_mov_b64 s[4:5], s[48:49]
	s_mov_b64 s[6:7], s[38:39]
	;; [unrolled: 1-line block ×4, first 2 shown]
	s_swap_pc_i64 s[30:31], s[0:1]
.LBB1_455:                              ;   in Loop: Header=BB1_90 Depth=1
	s_mov_b32 s0, 0
.LBB1_456:                              ;   in Loop: Header=BB1_90 Depth=1
	s_delay_alu instid0(SALU_CYCLE_1)
	s_and_b32 vcc_lo, exec_lo, s0
	s_cbranch_vccz .LBB1_461
; %bb.457:                              ;   in Loop: Header=BB1_90 Depth=1
	s_cmp_eq_u32 s101, 34
	s_mov_b32 s0, -1
	s_cbranch_scc1 .LBB1_459
; %bb.458:                              ;   in Loop: Header=BB1_90 Depth=1
	v_mov_b32_e32 v31, v40
	s_get_pc_i64 s[0:1]
	s_add_nc_u64 s[0:1], s[0:1], _Z49ncclDevFunc_Reduce_RING_SIMPLE_PreMulSum_u8_0_0_2v@rel64+4
	s_mov_b64 s[4:5], s[48:49]
	s_mov_b64 s[6:7], s[38:39]
	;; [unrolled: 1-line block ×4, first 2 shown]
	s_swap_pc_i64 s[30:31], s[0:1]
	s_mov_b32 s0, 0
.LBB1_459:                              ;   in Loop: Header=BB1_90 Depth=1
	s_delay_alu instid0(SALU_CYCLE_1)
	s_and_not1_b32 vcc_lo, exec_lo, s0
	s_cbranch_vccnz .LBB1_461
; %bb.460:                              ;   in Loop: Header=BB1_90 Depth=1
	v_mov_b32_e32 v31, v40
	s_get_pc_i64 s[0:1]
	s_add_nc_u64 s[0:1], s[0:1], _Z50ncclDevFunc_Reduce_RING_SIMPLE_PreMulSum_u32_0_0_2v@rel64+4
	s_mov_b64 s[4:5], s[48:49]
	s_mov_b64 s[6:7], s[38:39]
	;; [unrolled: 1-line block ×4, first 2 shown]
	s_swap_pc_i64 s[30:31], s[0:1]
.LBB1_461:                              ;   in Loop: Header=BB1_90 Depth=1
	s_mov_b32 s0, 0
.LBB1_462:                              ;   in Loop: Header=BB1_90 Depth=1
	s_delay_alu instid0(SALU_CYCLE_1)
	s_and_not1_b32 vcc_lo, exec_lo, s0
	s_cbranch_vccnz .LBB1_500
; %bb.463:                              ;   in Loop: Header=BB1_90 Depth=1
	s_cmp_gt_u32 s101, 26
	s_mov_b32 s0, -1
	s_cbranch_scc0 .LBB1_484
; %bb.464:                              ;   in Loop: Header=BB1_90 Depth=1
	s_cmp_gt_u32 s101, 29
	s_cbranch_scc0 .LBB1_474
; %bb.465:                              ;   in Loop: Header=BB1_90 Depth=1
	s_sext_i32_i16 s0, s100
	s_delay_alu instid0(SALU_CYCLE_1)
	s_cmp_lt_i32 s0, 31
	s_mov_b32 s0, -1
	s_cbranch_scc1 .LBB1_471
; %bb.466:                              ;   in Loop: Header=BB1_90 Depth=1
	s_cmp_lg_u32 s101, 31
	s_cbranch_scc0 .LBB1_468
; %bb.467:                              ;   in Loop: Header=BB1_90 Depth=1
	v_mov_b32_e32 v31, v40
	s_get_pc_i64 s[0:1]
	s_add_nc_u64 s[0:1], s[0:1], _Z50ncclDevFunc_Reduce_RING_SIMPLE_MinMax_f8e5m2_0_0_2v@rel64+4
	s_mov_b64 s[4:5], s[48:49]
	s_mov_b64 s[6:7], s[38:39]
	s_mov_b64 s[8:9], s[50:51]
	s_mov_b64 s[10:11], s[34:35]
	s_swap_pc_i64 s[30:31], s[0:1]
	s_mov_b32 s0, 0
.LBB1_468:                              ;   in Loop: Header=BB1_90 Depth=1
	s_delay_alu instid0(SALU_CYCLE_1)
	s_and_not1_b32 vcc_lo, exec_lo, s0
	s_cbranch_vccnz .LBB1_470
; %bb.469:                              ;   in Loop: Header=BB1_90 Depth=1
	v_mov_b32_e32 v31, v40
	s_get_pc_i64 s[0:1]
	s_add_nc_u64 s[0:1], s[0:1], _Z50ncclDevFunc_Reduce_RING_SIMPLE_MinMax_f8e4m3_0_0_2v@rel64+4
	s_mov_b64 s[4:5], s[48:49]
	s_mov_b64 s[6:7], s[38:39]
	;; [unrolled: 1-line block ×4, first 2 shown]
	s_swap_pc_i64 s[30:31], s[0:1]
.LBB1_470:                              ;   in Loop: Header=BB1_90 Depth=1
	s_mov_b32 s0, 0
.LBB1_471:                              ;   in Loop: Header=BB1_90 Depth=1
	s_delay_alu instid0(SALU_CYCLE_1)
	s_and_not1_b32 vcc_lo, exec_lo, s0
	s_cbranch_vccnz .LBB1_473
; %bb.472:                              ;   in Loop: Header=BB1_90 Depth=1
	v_mov_b32_e32 v31, v40
	s_get_pc_i64 s[0:1]
	s_add_nc_u64 s[0:1], s[0:1], _Z48ncclDevFunc_Reduce_RING_SIMPLE_MinMax_bf16_0_1_2v@rel64+4
	s_mov_b64 s[4:5], s[48:49]
	s_mov_b64 s[6:7], s[38:39]
	;; [unrolled: 1-line block ×4, first 2 shown]
	s_swap_pc_i64 s[30:31], s[0:1]
.LBB1_473:                              ;   in Loop: Header=BB1_90 Depth=1
	s_mov_b32 s0, 0
.LBB1_474:                              ;   in Loop: Header=BB1_90 Depth=1
	s_delay_alu instid0(SALU_CYCLE_1)
	s_and_b32 vcc_lo, exec_lo, s0
	s_cbranch_vccz .LBB1_483
; %bb.475:                              ;   in Loop: Header=BB1_90 Depth=1
	s_sext_i32_i16 s0, s100
	s_delay_alu instid0(SALU_CYCLE_1)
	s_cmp_lt_i32 s0, 28
	s_mov_b32 s0, -1
	s_cbranch_scc1 .LBB1_481
; %bb.476:                              ;   in Loop: Header=BB1_90 Depth=1
	s_cmp_lg_u32 s101, 28
	s_cbranch_scc0 .LBB1_478
; %bb.477:                              ;   in Loop: Header=BB1_90 Depth=1
	v_mov_b32_e32 v31, v40
	s_get_pc_i64 s[0:1]
	s_add_nc_u64 s[0:1], s[0:1], _Z48ncclDevFunc_Reduce_RING_SIMPLE_MinMax_bf16_0_0_2v@rel64+4
	s_mov_b64 s[4:5], s[48:49]
	s_mov_b64 s[6:7], s[38:39]
	;; [unrolled: 1-line block ×4, first 2 shown]
	s_swap_pc_i64 s[30:31], s[0:1]
	s_mov_b32 s0, 0
.LBB1_478:                              ;   in Loop: Header=BB1_90 Depth=1
	s_delay_alu instid0(SALU_CYCLE_1)
	s_and_not1_b32 vcc_lo, exec_lo, s0
	s_cbranch_vccnz .LBB1_480
; %bb.479:                              ;   in Loop: Header=BB1_90 Depth=1
	v_mov_b32_e32 v31, v40
	s_get_pc_i64 s[0:1]
	s_add_nc_u64 s[0:1], s[0:1], _Z47ncclDevFunc_Reduce_RING_SIMPLE_MinMax_f64_0_0_2v@rel64+4
	s_mov_b64 s[4:5], s[48:49]
	s_mov_b64 s[6:7], s[38:39]
	;; [unrolled: 1-line block ×4, first 2 shown]
	s_swap_pc_i64 s[30:31], s[0:1]
.LBB1_480:                              ;   in Loop: Header=BB1_90 Depth=1
	s_mov_b32 s0, 0
.LBB1_481:                              ;   in Loop: Header=BB1_90 Depth=1
	s_delay_alu instid0(SALU_CYCLE_1)
	s_and_not1_b32 vcc_lo, exec_lo, s0
	s_cbranch_vccnz .LBB1_483
; %bb.482:                              ;   in Loop: Header=BB1_90 Depth=1
	v_mov_b32_e32 v31, v40
	s_get_pc_i64 s[0:1]
	s_add_nc_u64 s[0:1], s[0:1], _Z47ncclDevFunc_Reduce_RING_SIMPLE_MinMax_f32_0_0_2v@rel64+4
	s_mov_b64 s[4:5], s[48:49]
	s_mov_b64 s[6:7], s[38:39]
	;; [unrolled: 1-line block ×4, first 2 shown]
	s_swap_pc_i64 s[30:31], s[0:1]
.LBB1_483:                              ;   in Loop: Header=BB1_90 Depth=1
	s_mov_b32 s0, 0
.LBB1_484:                              ;   in Loop: Header=BB1_90 Depth=1
	s_delay_alu instid0(SALU_CYCLE_1)
	s_and_not1_b32 vcc_lo, exec_lo, s0
	s_cbranch_vccnz .LBB1_500
; %bb.485:                              ;   in Loop: Header=BB1_90 Depth=1
	s_cmp_gt_u32 s101, 23
	s_mov_b32 s0, -1
	s_cbranch_scc0 .LBB1_495
; %bb.486:                              ;   in Loop: Header=BB1_90 Depth=1
	s_sext_i32_i16 s0, s100
	s_delay_alu instid0(SALU_CYCLE_1)
	s_cmp_lt_i32 s0, 25
	s_mov_b32 s0, -1
	s_cbranch_scc1 .LBB1_492
; %bb.487:                              ;   in Loop: Header=BB1_90 Depth=1
	s_cmp_lg_u32 s101, 25
	s_cbranch_scc0 .LBB1_489
; %bb.488:                              ;   in Loop: Header=BB1_90 Depth=1
	v_mov_b32_e32 v31, v40
	s_get_pc_i64 s[0:1]
	s_add_nc_u64 s[0:1], s[0:1], _Z47ncclDevFunc_Reduce_RING_SIMPLE_MinMax_f16_0_0_2v@rel64+4
	s_mov_b64 s[4:5], s[48:49]
	s_mov_b64 s[6:7], s[38:39]
	;; [unrolled: 1-line block ×4, first 2 shown]
	s_swap_pc_i64 s[30:31], s[0:1]
	s_mov_b32 s0, 0
.LBB1_489:                              ;   in Loop: Header=BB1_90 Depth=1
	s_delay_alu instid0(SALU_CYCLE_1)
	s_and_not1_b32 vcc_lo, exec_lo, s0
	s_cbranch_vccnz .LBB1_491
; %bb.490:                              ;   in Loop: Header=BB1_90 Depth=1
	v_mov_b32_e32 v31, v40
	s_get_pc_i64 s[0:1]
	s_add_nc_u64 s[0:1], s[0:1], _Z47ncclDevFunc_Reduce_RING_SIMPLE_MinMax_u64_0_0_2v@rel64+4
	s_mov_b64 s[4:5], s[48:49]
	s_mov_b64 s[6:7], s[38:39]
	;; [unrolled: 1-line block ×4, first 2 shown]
	s_swap_pc_i64 s[30:31], s[0:1]
.LBB1_491:                              ;   in Loop: Header=BB1_90 Depth=1
	s_mov_b32 s0, 0
.LBB1_492:                              ;   in Loop: Header=BB1_90 Depth=1
	s_delay_alu instid0(SALU_CYCLE_1)
	s_and_not1_b32 vcc_lo, exec_lo, s0
	s_cbranch_vccnz .LBB1_494
; %bb.493:                              ;   in Loop: Header=BB1_90 Depth=1
	v_mov_b32_e32 v31, v40
	s_get_pc_i64 s[0:1]
	s_add_nc_u64 s[0:1], s[0:1], _Z47ncclDevFunc_Reduce_RING_SIMPLE_MinMax_u32_0_0_2v@rel64+4
	s_mov_b64 s[4:5], s[48:49]
	s_mov_b64 s[6:7], s[38:39]
	;; [unrolled: 1-line block ×4, first 2 shown]
	s_swap_pc_i64 s[30:31], s[0:1]
.LBB1_494:                              ;   in Loop: Header=BB1_90 Depth=1
	s_mov_b32 s0, 0
.LBB1_495:                              ;   in Loop: Header=BB1_90 Depth=1
	s_delay_alu instid0(SALU_CYCLE_1)
	s_and_b32 vcc_lo, exec_lo, s0
	s_cbranch_vccz .LBB1_500
; %bb.496:                              ;   in Loop: Header=BB1_90 Depth=1
	s_cmp_eq_u32 s101, 23
	s_mov_b32 s0, -1
	s_cbranch_scc1 .LBB1_498
; %bb.497:                              ;   in Loop: Header=BB1_90 Depth=1
	v_mov_b32_e32 v31, v40
	s_get_pc_i64 s[0:1]
	s_add_nc_u64 s[0:1], s[0:1], _Z48ncclDevFunc_Reduce_RING_SIMPLE_Prod_f8e5m2_0_0_2v@rel64+4
	s_mov_b64 s[4:5], s[48:49]
	s_mov_b64 s[6:7], s[38:39]
	;; [unrolled: 1-line block ×4, first 2 shown]
	s_swap_pc_i64 s[30:31], s[0:1]
	s_mov_b32 s0, 0
.LBB1_498:                              ;   in Loop: Header=BB1_90 Depth=1
	s_delay_alu instid0(SALU_CYCLE_1)
	s_and_not1_b32 vcc_lo, exec_lo, s0
	s_cbranch_vccnz .LBB1_500
; %bb.499:                              ;   in Loop: Header=BB1_90 Depth=1
	v_mov_b32_e32 v31, v40
	s_get_pc_i64 s[0:1]
	s_add_nc_u64 s[0:1], s[0:1], _Z46ncclDevFunc_Reduce_RING_SIMPLE_MinMax_u8_0_0_2v@rel64+4
	s_mov_b64 s[4:5], s[48:49]
	s_mov_b64 s[6:7], s[38:39]
	;; [unrolled: 1-line block ×4, first 2 shown]
	s_swap_pc_i64 s[30:31], s[0:1]
.LBB1_500:                              ;   in Loop: Header=BB1_90 Depth=1
	s_mov_b32 s0, 0
.LBB1_501:                              ;   in Loop: Header=BB1_90 Depth=1
	s_delay_alu instid0(SALU_CYCLE_1)
	s_and_not1_b32 vcc_lo, exec_lo, s0
	s_cbranch_vccnz .LBB1_576
; %bb.502:                              ;   in Loop: Header=BB1_90 Depth=1
	s_cmp_gt_u32 s101, 10
	s_mov_b32 s0, -1
	s_cbranch_scc0 .LBB1_541
; %bb.503:                              ;   in Loop: Header=BB1_90 Depth=1
	s_cmp_gt_u32 s101, 15
	s_cbranch_scc0 .LBB1_524
; %bb.504:                              ;   in Loop: Header=BB1_90 Depth=1
	s_cmp_gt_u32 s101, 18
	s_cbranch_scc0 .LBB1_514
; %bb.505:                              ;   in Loop: Header=BB1_90 Depth=1
	s_sext_i32_i16 s0, s100
	s_delay_alu instid0(SALU_CYCLE_1)
	s_cmp_lt_i32 s0, 20
	s_mov_b32 s0, -1
	s_cbranch_scc1 .LBB1_511
; %bb.506:                              ;   in Loop: Header=BB1_90 Depth=1
	s_cmp_lg_u32 s101, 20
	s_cbranch_scc0 .LBB1_508
; %bb.507:                              ;   in Loop: Header=BB1_90 Depth=1
	v_mov_b32_e32 v31, v40
	s_get_pc_i64 s[0:1]
	s_add_nc_u64 s[0:1], s[0:1], _Z48ncclDevFunc_Reduce_RING_SIMPLE_Prod_f8e4m3_0_0_2v@rel64+4
	s_mov_b64 s[4:5], s[48:49]
	s_mov_b64 s[6:7], s[38:39]
	;; [unrolled: 1-line block ×4, first 2 shown]
	s_swap_pc_i64 s[30:31], s[0:1]
	s_mov_b32 s0, 0
.LBB1_508:                              ;   in Loop: Header=BB1_90 Depth=1
	s_delay_alu instid0(SALU_CYCLE_1)
	s_and_not1_b32 vcc_lo, exec_lo, s0
	s_cbranch_vccnz .LBB1_510
; %bb.509:                              ;   in Loop: Header=BB1_90 Depth=1
	v_mov_b32_e32 v31, v40
	s_get_pc_i64 s[0:1]
	s_add_nc_u64 s[0:1], s[0:1], _Z46ncclDevFunc_Reduce_RING_SIMPLE_Prod_bf16_0_1_2v@rel64+4
	s_mov_b64 s[4:5], s[48:49]
	s_mov_b64 s[6:7], s[38:39]
	;; [unrolled: 1-line block ×4, first 2 shown]
	s_swap_pc_i64 s[30:31], s[0:1]
.LBB1_510:                              ;   in Loop: Header=BB1_90 Depth=1
	s_mov_b32 s0, 0
.LBB1_511:                              ;   in Loop: Header=BB1_90 Depth=1
	s_delay_alu instid0(SALU_CYCLE_1)
	s_and_not1_b32 vcc_lo, exec_lo, s0
	s_cbranch_vccnz .LBB1_513
; %bb.512:                              ;   in Loop: Header=BB1_90 Depth=1
	v_mov_b32_e32 v31, v40
	s_get_pc_i64 s[0:1]
	s_add_nc_u64 s[0:1], s[0:1], _Z46ncclDevFunc_Reduce_RING_SIMPLE_Prod_bf16_0_0_2v@rel64+4
	s_mov_b64 s[4:5], s[48:49]
	s_mov_b64 s[6:7], s[38:39]
	;; [unrolled: 1-line block ×4, first 2 shown]
	s_swap_pc_i64 s[30:31], s[0:1]
.LBB1_513:                              ;   in Loop: Header=BB1_90 Depth=1
	s_mov_b32 s0, 0
.LBB1_514:                              ;   in Loop: Header=BB1_90 Depth=1
	s_delay_alu instid0(SALU_CYCLE_1)
	s_and_b32 vcc_lo, exec_lo, s0
	s_cbranch_vccz .LBB1_523
; %bb.515:                              ;   in Loop: Header=BB1_90 Depth=1
	s_sext_i32_i16 s0, s100
	s_delay_alu instid0(SALU_CYCLE_1)
	s_cmp_lt_i32 s0, 17
	s_mov_b32 s0, -1
	s_cbranch_scc1 .LBB1_521
; %bb.516:                              ;   in Loop: Header=BB1_90 Depth=1
	s_cmp_lg_u32 s101, 17
	s_cbranch_scc0 .LBB1_518
; %bb.517:                              ;   in Loop: Header=BB1_90 Depth=1
	v_mov_b32_e32 v31, v40
	s_get_pc_i64 s[0:1]
	s_add_nc_u64 s[0:1], s[0:1], _Z45ncclDevFunc_Reduce_RING_SIMPLE_Prod_f64_0_0_2v@rel64+4
	s_mov_b64 s[4:5], s[48:49]
	s_mov_b64 s[6:7], s[38:39]
	;; [unrolled: 1-line block ×4, first 2 shown]
	s_swap_pc_i64 s[30:31], s[0:1]
	s_mov_b32 s0, 0
.LBB1_518:                              ;   in Loop: Header=BB1_90 Depth=1
	s_delay_alu instid0(SALU_CYCLE_1)
	s_and_not1_b32 vcc_lo, exec_lo, s0
	s_cbranch_vccnz .LBB1_520
; %bb.519:                              ;   in Loop: Header=BB1_90 Depth=1
	v_mov_b32_e32 v31, v40
	s_get_pc_i64 s[0:1]
	s_add_nc_u64 s[0:1], s[0:1], _Z45ncclDevFunc_Reduce_RING_SIMPLE_Prod_f32_0_0_2v@rel64+4
	s_mov_b64 s[4:5], s[48:49]
	s_mov_b64 s[6:7], s[38:39]
	;; [unrolled: 1-line block ×4, first 2 shown]
	s_swap_pc_i64 s[30:31], s[0:1]
.LBB1_520:                              ;   in Loop: Header=BB1_90 Depth=1
	s_mov_b32 s0, 0
.LBB1_521:                              ;   in Loop: Header=BB1_90 Depth=1
	s_delay_alu instid0(SALU_CYCLE_1)
	s_and_not1_b32 vcc_lo, exec_lo, s0
	s_cbranch_vccnz .LBB1_523
; %bb.522:                              ;   in Loop: Header=BB1_90 Depth=1
	v_mov_b32_e32 v31, v40
	s_get_pc_i64 s[0:1]
	s_add_nc_u64 s[0:1], s[0:1], _Z45ncclDevFunc_Reduce_RING_SIMPLE_Prod_f16_0_0_2v@rel64+4
	s_mov_b64 s[4:5], s[48:49]
	s_mov_b64 s[6:7], s[38:39]
	;; [unrolled: 1-line block ×4, first 2 shown]
	s_swap_pc_i64 s[30:31], s[0:1]
.LBB1_523:                              ;   in Loop: Header=BB1_90 Depth=1
	s_mov_b32 s0, 0
.LBB1_524:                              ;   in Loop: Header=BB1_90 Depth=1
	s_delay_alu instid0(SALU_CYCLE_1)
	s_and_not1_b32 vcc_lo, exec_lo, s0
	s_cbranch_vccnz .LBB1_540
; %bb.525:                              ;   in Loop: Header=BB1_90 Depth=1
	s_cmp_gt_u32 s101, 12
	s_mov_b32 s0, -1
	s_cbranch_scc0 .LBB1_535
; %bb.526:                              ;   in Loop: Header=BB1_90 Depth=1
	s_sext_i32_i16 s0, s100
	s_delay_alu instid0(SALU_CYCLE_1)
	s_cmp_lt_i32 s0, 14
	s_mov_b32 s0, -1
	s_cbranch_scc1 .LBB1_532
; %bb.527:                              ;   in Loop: Header=BB1_90 Depth=1
	s_cmp_lg_u32 s101, 14
	s_cbranch_scc0 .LBB1_529
; %bb.528:                              ;   in Loop: Header=BB1_90 Depth=1
	v_mov_b32_e32 v31, v40
	s_get_pc_i64 s[0:1]
	s_add_nc_u64 s[0:1], s[0:1], _Z45ncclDevFunc_Reduce_RING_SIMPLE_Prod_u64_0_0_2v@rel64+4
	s_mov_b64 s[4:5], s[48:49]
	s_mov_b64 s[6:7], s[38:39]
	;; [unrolled: 1-line block ×4, first 2 shown]
	s_swap_pc_i64 s[30:31], s[0:1]
	s_mov_b32 s0, 0
.LBB1_529:                              ;   in Loop: Header=BB1_90 Depth=1
	s_delay_alu instid0(SALU_CYCLE_1)
	s_and_not1_b32 vcc_lo, exec_lo, s0
	s_cbranch_vccnz .LBB1_531
; %bb.530:                              ;   in Loop: Header=BB1_90 Depth=1
	v_mov_b32_e32 v31, v40
	s_get_pc_i64 s[0:1]
	s_add_nc_u64 s[0:1], s[0:1], _Z45ncclDevFunc_Reduce_RING_SIMPLE_Prod_u32_0_0_2v@rel64+4
	s_mov_b64 s[4:5], s[48:49]
	s_mov_b64 s[6:7], s[38:39]
	;; [unrolled: 1-line block ×4, first 2 shown]
	s_swap_pc_i64 s[30:31], s[0:1]
.LBB1_531:                              ;   in Loop: Header=BB1_90 Depth=1
	s_mov_b32 s0, 0
.LBB1_532:                              ;   in Loop: Header=BB1_90 Depth=1
	s_delay_alu instid0(SALU_CYCLE_1)
	s_and_not1_b32 vcc_lo, exec_lo, s0
	s_cbranch_vccnz .LBB1_534
; %bb.533:                              ;   in Loop: Header=BB1_90 Depth=1
	v_mov_b32_e32 v31, v40
	s_get_pc_i64 s[0:1]
	s_add_nc_u64 s[0:1], s[0:1], _Z44ncclDevFunc_Reduce_RING_SIMPLE_Prod_u8_0_0_2v@rel64+4
	s_mov_b64 s[4:5], s[48:49]
	s_mov_b64 s[6:7], s[38:39]
	;; [unrolled: 1-line block ×4, first 2 shown]
	s_swap_pc_i64 s[30:31], s[0:1]
.LBB1_534:                              ;   in Loop: Header=BB1_90 Depth=1
	s_mov_b32 s0, 0
.LBB1_535:                              ;   in Loop: Header=BB1_90 Depth=1
	s_delay_alu instid0(SALU_CYCLE_1)
	s_and_b32 vcc_lo, exec_lo, s0
	s_cbranch_vccz .LBB1_540
; %bb.536:                              ;   in Loop: Header=BB1_90 Depth=1
	s_cmp_eq_u32 s101, 12
	s_mov_b32 s0, -1
	s_cbranch_scc1 .LBB1_538
; %bb.537:                              ;   in Loop: Header=BB1_90 Depth=1
	v_mov_b32_e32 v31, v40
	s_get_pc_i64 s[0:1]
	s_add_nc_u64 s[0:1], s[0:1], _Z47ncclDevFunc_Reduce_RING_SIMPLE_Sum_f8e4m3_0_0_2v@rel64+4
	s_mov_b64 s[4:5], s[48:49]
	s_mov_b64 s[6:7], s[38:39]
	;; [unrolled: 1-line block ×4, first 2 shown]
	s_swap_pc_i64 s[30:31], s[0:1]
	s_mov_b32 s0, 0
.LBB1_538:                              ;   in Loop: Header=BB1_90 Depth=1
	s_delay_alu instid0(SALU_CYCLE_1)
	s_and_not1_b32 vcc_lo, exec_lo, s0
	s_cbranch_vccnz .LBB1_540
; %bb.539:                              ;   in Loop: Header=BB1_90 Depth=1
	v_mov_b32_e32 v31, v40
	s_get_pc_i64 s[0:1]
	s_add_nc_u64 s[0:1], s[0:1], _Z47ncclDevFunc_Reduce_RING_SIMPLE_Sum_f8e5m2_0_0_2v@rel64+4
	s_mov_b64 s[4:5], s[48:49]
	s_mov_b64 s[6:7], s[38:39]
	s_mov_b64 s[8:9], s[50:51]
	s_mov_b64 s[10:11], s[34:35]
	s_swap_pc_i64 s[30:31], s[0:1]
.LBB1_540:                              ;   in Loop: Header=BB1_90 Depth=1
	s_mov_b32 s0, 0
.LBB1_541:                              ;   in Loop: Header=BB1_90 Depth=1
	s_delay_alu instid0(SALU_CYCLE_1)
	s_and_not1_b32 vcc_lo, exec_lo, s0
	s_cbranch_vccnz .LBB1_576
; %bb.542:                              ;   in Loop: Header=BB1_90 Depth=1
	s_cmp_gt_u32 s101, 4
	s_mov_b32 s0, -1
	s_cbranch_scc0 .LBB1_563
; %bb.543:                              ;   in Loop: Header=BB1_90 Depth=1
	s_cmp_gt_u32 s101, 7
	s_cbranch_scc0 .LBB1_553
; %bb.544:                              ;   in Loop: Header=BB1_90 Depth=1
	s_sext_i32_i16 s0, s100
	s_delay_alu instid0(SALU_CYCLE_1)
	s_cmp_lt_i32 s0, 9
	s_mov_b32 s0, -1
	s_cbranch_scc1 .LBB1_550
; %bb.545:                              ;   in Loop: Header=BB1_90 Depth=1
	s_cmp_lg_u32 s101, 9
	s_cbranch_scc0 .LBB1_547
; %bb.546:                              ;   in Loop: Header=BB1_90 Depth=1
	v_mov_b32_e32 v31, v40
	s_get_pc_i64 s[0:1]
	s_add_nc_u64 s[0:1], s[0:1], _Z45ncclDevFunc_Reduce_RING_SIMPLE_Sum_bf16_0_1_2v@rel64+4
	s_mov_b64 s[4:5], s[48:49]
	s_mov_b64 s[6:7], s[38:39]
	;; [unrolled: 1-line block ×4, first 2 shown]
	s_swap_pc_i64 s[30:31], s[0:1]
	s_mov_b32 s0, 0
.LBB1_547:                              ;   in Loop: Header=BB1_90 Depth=1
	s_delay_alu instid0(SALU_CYCLE_1)
	s_and_not1_b32 vcc_lo, exec_lo, s0
	s_cbranch_vccnz .LBB1_549
; %bb.548:                              ;   in Loop: Header=BB1_90 Depth=1
	v_mov_b32_e32 v31, v40
	s_get_pc_i64 s[0:1]
	s_add_nc_u64 s[0:1], s[0:1], _Z45ncclDevFunc_Reduce_RING_SIMPLE_Sum_bf16_0_0_2v@rel64+4
	s_mov_b64 s[4:5], s[48:49]
	s_mov_b64 s[6:7], s[38:39]
	;; [unrolled: 1-line block ×4, first 2 shown]
	s_swap_pc_i64 s[30:31], s[0:1]
.LBB1_549:                              ;   in Loop: Header=BB1_90 Depth=1
	s_mov_b32 s0, 0
.LBB1_550:                              ;   in Loop: Header=BB1_90 Depth=1
	s_delay_alu instid0(SALU_CYCLE_1)
	s_and_not1_b32 vcc_lo, exec_lo, s0
	s_cbranch_vccnz .LBB1_552
; %bb.551:                              ;   in Loop: Header=BB1_90 Depth=1
	v_mov_b32_e32 v31, v40
	s_get_pc_i64 s[0:1]
	s_add_nc_u64 s[0:1], s[0:1], _Z44ncclDevFunc_Reduce_RING_SIMPLE_Sum_f64_0_0_2v@rel64+4
	s_mov_b64 s[4:5], s[48:49]
	s_mov_b64 s[6:7], s[38:39]
	;; [unrolled: 1-line block ×4, first 2 shown]
	s_swap_pc_i64 s[30:31], s[0:1]
.LBB1_552:                              ;   in Loop: Header=BB1_90 Depth=1
	s_mov_b32 s0, 0
.LBB1_553:                              ;   in Loop: Header=BB1_90 Depth=1
	s_delay_alu instid0(SALU_CYCLE_1)
	s_and_b32 vcc_lo, exec_lo, s0
	s_cbranch_vccz .LBB1_562
; %bb.554:                              ;   in Loop: Header=BB1_90 Depth=1
	s_sext_i32_i16 s0, s100
	s_delay_alu instid0(SALU_CYCLE_1)
	s_cmp_lt_i32 s0, 6
	s_mov_b32 s0, -1
	s_cbranch_scc1 .LBB1_560
; %bb.555:                              ;   in Loop: Header=BB1_90 Depth=1
	s_cmp_lg_u32 s101, 6
	s_cbranch_scc0 .LBB1_557
; %bb.556:                              ;   in Loop: Header=BB1_90 Depth=1
	v_mov_b32_e32 v31, v40
	s_get_pc_i64 s[0:1]
	s_add_nc_u64 s[0:1], s[0:1], _Z44ncclDevFunc_Reduce_RING_SIMPLE_Sum_f32_0_0_2v@rel64+4
	s_mov_b64 s[4:5], s[48:49]
	s_mov_b64 s[6:7], s[38:39]
	;; [unrolled: 1-line block ×4, first 2 shown]
	s_swap_pc_i64 s[30:31], s[0:1]
	s_mov_b32 s0, 0
.LBB1_557:                              ;   in Loop: Header=BB1_90 Depth=1
	s_delay_alu instid0(SALU_CYCLE_1)
	s_and_not1_b32 vcc_lo, exec_lo, s0
	s_cbranch_vccnz .LBB1_559
; %bb.558:                              ;   in Loop: Header=BB1_90 Depth=1
	v_mov_b32_e32 v31, v40
	s_get_pc_i64 s[0:1]
	s_add_nc_u64 s[0:1], s[0:1], _Z44ncclDevFunc_Reduce_RING_SIMPLE_Sum_f16_0_0_2v@rel64+4
	s_mov_b64 s[4:5], s[48:49]
	s_mov_b64 s[6:7], s[38:39]
	;; [unrolled: 1-line block ×4, first 2 shown]
	s_swap_pc_i64 s[30:31], s[0:1]
.LBB1_559:                              ;   in Loop: Header=BB1_90 Depth=1
	s_mov_b32 s0, 0
.LBB1_560:                              ;   in Loop: Header=BB1_90 Depth=1
	s_delay_alu instid0(SALU_CYCLE_1)
	s_and_not1_b32 vcc_lo, exec_lo, s0
	s_cbranch_vccnz .LBB1_562
; %bb.561:                              ;   in Loop: Header=BB1_90 Depth=1
	v_mov_b32_e32 v31, v40
	s_get_pc_i64 s[0:1]
	s_add_nc_u64 s[0:1], s[0:1], _Z44ncclDevFunc_Reduce_RING_SIMPLE_Sum_u64_0_0_2v@rel64+4
	s_mov_b64 s[4:5], s[48:49]
	s_mov_b64 s[6:7], s[38:39]
	;; [unrolled: 1-line block ×4, first 2 shown]
	s_swap_pc_i64 s[30:31], s[0:1]
.LBB1_562:                              ;   in Loop: Header=BB1_90 Depth=1
	s_mov_b32 s0, 0
.LBB1_563:                              ;   in Loop: Header=BB1_90 Depth=1
	s_delay_alu instid0(SALU_CYCLE_1)
	s_and_not1_b32 vcc_lo, exec_lo, s0
	s_cbranch_vccnz .LBB1_576
; %bb.564:                              ;   in Loop: Header=BB1_90 Depth=1
	s_cmp_gt_u32 s101, 1
	s_mov_b32 s0, -1
	s_cbranch_scc0 .LBB1_574
; %bb.565:                              ;   in Loop: Header=BB1_90 Depth=1
	s_sext_i32_i16 s0, s100
	s_delay_alu instid0(SALU_CYCLE_1)
	s_cmp_lt_i32 s0, 3
	s_mov_b32 s0, -1
	s_cbranch_scc1 .LBB1_571
; %bb.566:                              ;   in Loop: Header=BB1_90 Depth=1
	s_cmp_lg_u32 s101, 3
	s_cbranch_scc0 .LBB1_568
; %bb.567:                              ;   in Loop: Header=BB1_90 Depth=1
	v_mov_b32_e32 v31, v40
	s_get_pc_i64 s[0:1]
	s_add_nc_u64 s[0:1], s[0:1], _Z44ncclDevFunc_Reduce_RING_SIMPLE_Sum_u32_0_0_2v@rel64+4
	s_mov_b64 s[4:5], s[48:49]
	s_mov_b64 s[6:7], s[38:39]
	;; [unrolled: 1-line block ×4, first 2 shown]
	s_swap_pc_i64 s[30:31], s[0:1]
	s_mov_b32 s0, 0
.LBB1_568:                              ;   in Loop: Header=BB1_90 Depth=1
	s_delay_alu instid0(SALU_CYCLE_1)
	s_and_not1_b32 vcc_lo, exec_lo, s0
	s_cbranch_vccnz .LBB1_570
; %bb.569:                              ;   in Loop: Header=BB1_90 Depth=1
	v_mov_b32_e32 v31, v40
	s_get_pc_i64 s[0:1]
	s_add_nc_u64 s[0:1], s[0:1], _Z43ncclDevFunc_Reduce_RING_SIMPLE_Sum_u8_0_0_2v@rel64+4
	s_mov_b64 s[4:5], s[48:49]
	s_mov_b64 s[6:7], s[38:39]
	;; [unrolled: 1-line block ×4, first 2 shown]
	s_swap_pc_i64 s[30:31], s[0:1]
.LBB1_570:                              ;   in Loop: Header=BB1_90 Depth=1
	s_mov_b32 s0, 0
.LBB1_571:                              ;   in Loop: Header=BB1_90 Depth=1
	s_delay_alu instid0(SALU_CYCLE_1)
	s_and_not1_b32 vcc_lo, exec_lo, s0
	s_cbranch_vccnz .LBB1_573
; %bb.572:                              ;   in Loop: Header=BB1_90 Depth=1
	v_mov_b32_e32 v31, v40
	s_get_pc_i64 s[0:1]
	s_add_nc_u64 s[0:1], s[0:1], _Z46ncclDevFunc_Broadcast_RING_SIMPLE_Sum_i8_0_0_2v@rel64+4
	s_mov_b64 s[4:5], s[48:49]
	s_mov_b64 s[6:7], s[38:39]
	s_mov_b64 s[8:9], s[50:51]
	s_mov_b64 s[10:11], s[34:35]
	s_swap_pc_i64 s[30:31], s[0:1]
.LBB1_573:                              ;   in Loop: Header=BB1_90 Depth=1
	s_mov_b32 s0, 0
.LBB1_574:                              ;   in Loop: Header=BB1_90 Depth=1
	s_delay_alu instid0(SALU_CYCLE_1)
	s_and_b32 vcc_lo, exec_lo, s0
	s_cbranch_vccz .LBB1_576
; %bb.575:                              ;   in Loop: Header=BB1_90 Depth=1
	v_mov_b32_e32 v31, v40
	s_get_pc_i64 s[0:1]
	s_add_nc_u64 s[0:1], s[0:1], _Z42ncclDevFunc_Broadcast_RING_LL_Sum_i8_0_0_2v@rel64+4
	s_mov_b64 s[4:5], s[48:49]
	s_mov_b64 s[6:7], s[38:39]
	;; [unrolled: 1-line block ×4, first 2 shown]
	s_swap_pc_i64 s[30:31], s[0:1]
.LBB1_576:                              ;   in Loop: Header=BB1_90 Depth=1
	ds_load_b32 v0, v41 offset:17060
	s_wait_dscnt 0x0
	v_cmp_eq_u32_e32 vcc_lo, -1, v0
	v_readfirstlane_b32 s2, v0
	s_cbranch_vccnz .LBB1_591
; %bb.577:                              ;   in Loop: Header=BB1_90 Depth=1
	s_wait_storecnt 0x0
	s_barrier_signal -1
	s_barrier_wait -1
	s_and_saveexec_b32 s0, s104
	s_cbranch_execz .LBB1_581
; %bb.578:                              ;   in Loop: Header=BB1_90 Depth=1
	s_and_saveexec_b32 s1, s52
; %bb.579:                              ;   in Loop: Header=BB1_90 Depth=1
	ds_store_b64 v41, v[42:43] offset:21208
; %bb.580:                              ;   in Loop: Header=BB1_90 Depth=1
	s_or_b32 exec_lo, exec_lo, s1
	ds_store_b64 v45, v[42:43]
.LBB1_581:                              ;   in Loop: Header=BB1_90 Depth=1
	s_or_b32 exec_lo, exec_lo, s0
	s_and_saveexec_b32 s0, s33
	s_cbranch_execz .LBB1_593
; %bb.582:                              ;   in Loop: Header=BB1_90 Depth=1
	ds_load_b32 v2, v41 offset:17068
	ds_load_b64 v[4:5], v41 offset:17040
	s_wait_dscnt 0x1
	v_ashrrev_i32_e32 v3, 31, v2
	s_wait_dscnt 0x0
	v_add_nc_u64_e32 v[0:1], 1, v[4:5]
	s_delay_alu instid0(VALU_DEP_2) | instskip(NEXT) | instid1(VALU_DEP_1)
	v_add_nc_u64_e32 v[6:7], v[4:5], v[2:3]
	v_cmp_gt_u64_e32 vcc_lo, v[0:1], v[6:7]
	s_cbranch_vccnz .LBB1_592
; %bb.583:                              ;   in Loop: Header=BB1_90 Depth=1
	ds_load_u8 v8, v41 offset:17064
	s_movk_i32 s1, 0x4f0e
	s_movk_i32 s3, 0x4eda
	s_branch .LBB1_585
.LBB1_584:                              ;   in Loop: Header=BB1_585 Depth=2
	s_wait_dscnt 0x0
	v_ashrrev_i32_e32 v3, 31, v2
	v_add_nc_u64_e32 v[0:1], 1, v[0:1]
	s_add_co_i32 s1, s1, 64
	s_addk_co_i32 s3, 0x80
	s_delay_alu instid0(VALU_DEP_2) | instskip(NEXT) | instid1(VALU_DEP_1)
	v_add_nc_u64_e32 v[6:7], v[4:5], v[2:3]
	v_cmp_le_u64_e32 vcc_lo, v[0:1], v[6:7]
	s_cbranch_vccz .LBB1_592
.LBB1_585:                              ;   Parent Loop BB1_90 Depth=1
                                        ; =>  This Inner Loop Header: Depth=2
	s_wait_dscnt 0x0
	v_and_b32_e32 v3, 0xff, v8
	s_delay_alu instid0(VALU_DEP_1)
	v_cmp_ne_u32_e32 vcc_lo, 0, v3
	s_cbranch_vccz .LBB1_590
; %bb.586:                              ;   in Loop: Header=BB1_585 Depth=2
	v_mov_b32_e32 v3, s3
	ds_load_u8 v3, v3
	s_wait_dscnt 0x0
	v_and_b32_e32 v3, 1, v3
	s_cbranch_execnz .LBB1_588
.LBB1_587:                              ;   in Loop: Header=BB1_585 Depth=2
	v_mov_b32_e32 v3, s1
	ds_load_u16 v3, v3
	s_wait_dscnt 0x0
	v_bfe_u32 v3, v3, 6, 1
.LBB1_588:                              ;   in Loop: Header=BB1_585 Depth=2
	s_delay_alu instid0(VALU_DEP_1)
	v_cmp_eq_u32_e32 vcc_lo, 0, v3
	s_cbranch_vccnz .LBB1_584
; %bb.589:                              ;   in Loop: Header=BB1_585 Depth=2
	s_sendmsg_rtn_b64 s[4:5], sendmsg(MSG_RTN_GET_REALTIME)
	ds_load_u8 v8, v41 offset:17064
	ds_load_b32 v2, v41 offset:16560
	ds_load_b64 v[4:5], v41 offset:16664
	s_wait_dscnt 0x1
	v_dual_ashrrev_i32 v3, 31, v2 :: v_dual_bitop2_b32 v6, 63, v0 bitop3:0x40
	s_delay_alu instid0(VALU_DEP_1) | instskip(SKIP_1) | instid1(VALU_DEP_1)
	v_lshlrev_b64_e32 v[2:3], 10, v[2:3]
	s_wait_dscnt 0x0
	v_add_nc_u64_e32 v[4:5], v[4:5], v[2:3]
	s_wait_kmcnt 0x0
	v_dual_mov_b32 v2, s4 :: v_dual_mov_b32 v3, s5
	s_delay_alu instid0(VALU_DEP_2) | instskip(NEXT) | instid1(VALU_DEP_3)
	v_readfirstlane_b32 s4, v4
	v_readfirstlane_b32 s5, v5
	flat_store_b128 v6, v[0:3], s[4:5] scale_offset
	ds_load_b64 v[4:5], v41 offset:17040
	s_wait_xcnt 0x0
	ds_load_b32 v2, v41 offset:17068
	s_branch .LBB1_584
.LBB1_590:                              ;   in Loop: Header=BB1_585 Depth=2
                                        ; implicit-def: $vgpr3
	s_branch .LBB1_587
.LBB1_591:                              ;   in Loop: Header=BB1_90 Depth=1
	s_cbranch_execz .LBB1_90
	s_branch .LBB1_76
.LBB1_592:                              ;   in Loop: Header=BB1_90 Depth=1
	ds_store_b64 v41, v[6:7] offset:17040
.LBB1_593:                              ;   in Loop: Header=BB1_90 Depth=1
	s_or_b32 exec_lo, exec_lo, s0
	v_mov_b32_e32 v8, v44
	s_mov_b32 s8, 0
                                        ; implicit-def: $vgpr0_vgpr1_vgpr2_vgpr3
	s_branch .LBB1_596
.LBB1_594:                              ;   in Loop: Header=BB1_596 Depth=2
	s_or_b32 exec_lo, exec_lo, s5
	v_mov_b32_e32 v4, v8
	s_mov_b32 s5, s2
.LBB1_595:                              ;   in Loop: Header=BB1_596 Depth=2
	s_delay_alu instid0(VALU_DEP_1)
	v_mov_b32_e32 v8, v4
	s_and_not1_b32 vcc_lo, exec_lo, s1
	s_mov_b32 s2, s5
	s_cbranch_vccz .LBB1_89
.LBB1_596:                              ;   Parent Loop BB1_90 Depth=1
                                        ; =>  This Inner Loop Header: Depth=2
	s_ashr_i32 s3, s2, 31
	s_delay_alu instid0(SALU_CYCLE_1) | instskip(NEXT) | instid1(SALU_CYCLE_1)
	s_lshl_b64 s[0:1], s[2:3], 4
	s_add_nc_u64 s[0:1], s[36:37], s[0:1]
	s_load_b128 s[4:7], s[0:1], 0x30
	s_wait_xcnt 0x0
	s_mov_b32 s0, exec_lo
	s_wait_kmcnt 0x0
	v_and_b32_e32 v4, s6, v47
	s_delay_alu instid0(VALU_DEP_1)
	v_cmpx_ne_u32_e32 0, v4
; %bb.597:                              ;   in Loop: Header=BB1_596 Depth=2
	v_and_b32_e32 v4, s6, v56
	s_delay_alu instid0(VALU_DEP_1)
	v_bcnt_u32_b32 v4, v4, v46
	ds_store_b8 v4, v44
; %bb.598:                              ;   in Loop: Header=BB1_596 Depth=2
	s_or_b32 exec_lo, exec_lo, s0
	v_and_b32_e32 v4, s7, v47
	s_bcnt1_i32_b32 s0, s6
	s_mov_b32 s1, exec_lo
	s_delay_alu instid0(VALU_DEP_1)
	v_cmpx_ne_u32_e32 0, v4
	s_cbranch_execz .LBB1_600
; %bb.599:                              ;   in Loop: Header=BB1_596 Depth=2
	v_and_b32_e32 v4, s7, v56
	s_delay_alu instid0(VALU_DEP_1) | instskip(NEXT) | instid1(VALU_DEP_1)
	v_bcnt_u32_b32 v4, v4, 0
	v_add3_u32 v4, v46, s0, v4
	ds_store_b8 v4, v57
.LBB1_600:                              ;   in Loop: Header=BB1_596 Depth=2
	s_or_b32 exec_lo, exec_lo, s1
	s_bcnt1_i32_b32 s6, s7
	s_bfe_u32 s3, s4, 0x2000f
	s_add_co_i32 s6, s6, s0
	s_cmp_lt_i32 s3, 1
	s_mov_b32 s0, -1
                                        ; implicit-def: $vgpr9
                                        ; implicit-def: $vgpr10
                                        ; implicit-def: $vgpr4
                                        ; implicit-def: $vgpr11
	s_cbranch_scc1 .LBB1_608
; %bb.601:                              ;   in Loop: Header=BB1_596 Depth=2
	s_cmp_lg_u32 s3, 1
                                        ; implicit-def: $vgpr9
                                        ; implicit-def: $vgpr10
                                        ; implicit-def: $vgpr4
	s_cbranch_scc0 .LBB1_603
; %bb.602:                              ;   in Loop: Header=BB1_596 Depth=2
	v_mul_hi_i32 v4, 0x66666667, v8
	s_mov_b32 s0, 0
	s_delay_alu instid0(VALU_DEP_1) | instskip(NEXT) | instid1(VALU_DEP_1)
	v_dual_lshrrev_b32 v5, 31, v4 :: v_dual_ashrrev_i32 v4, 3, v4
	v_add_nc_u32_e32 v9, v4, v5
	v_mul_u32_u24_e64 v4, s6, 20
	s_delay_alu instid0(VALU_DEP_2) | instskip(NEXT) | instid1(VALU_DEP_1)
	v_mul_lo_u32 v5, v9, 20
	v_sub_nc_u32_e32 v10, v8, v5
.LBB1_603:                              ;   in Loop: Header=BB1_596 Depth=2
	s_and_not1_b32 vcc_lo, exec_lo, s0
	s_movk_i32 s0, 0x140
	s_cbranch_vccnz .LBB1_605
; %bb.604:                              ;   in Loop: Header=BB1_596 Depth=2
	v_ashrrev_i32_e32 v4, 31, v8
	s_lshl_b32 s0, s6, 3
	s_delay_alu instid0(VALU_DEP_1) | instskip(NEXT) | instid1(VALU_DEP_1)
	v_lshrrev_b32_e32 v4, 29, v4
	v_add_nc_u32_e32 v4, v8, v4
	s_delay_alu instid0(VALU_DEP_1) | instskip(SKIP_2) | instid1(VALU_DEP_2)
	v_dual_ashrrev_i32 v9, 3, v4 :: v_dual_bitop2_b32 v5, -8, v4 bitop3:0x40
	v_mov_b32_e32 v4, s0
	s_movk_i32 s0, 0x80
	v_sub_nc_u32_e32 v10, v8, v5
.LBB1_605:                              ;   in Loop: Header=BB1_596 Depth=2
	v_mov_b32_e32 v11, s0
	s_cbranch_execz .LBB1_609
.LBB1_606:                              ;   in Loop: Header=BB1_596 Depth=2
	v_cmp_eq_u32_e64 s0, 0, v8
	s_and_saveexec_b32 s1, s0
	s_cbranch_execz .LBB1_610
.LBB1_607:                              ;   in Loop: Header=BB1_596 Depth=2
	ds_store_b32 v41, v11 offset:17072
	s_or_b32 exec_lo, exec_lo, s1
	s_delay_alu instid0(SALU_CYCLE_1)
	s_mov_b32 s7, exec_lo
	v_cmpx_lt_i32_e64 v8, v4
	s_cbranch_execz .LBB1_618
	s_branch .LBB1_611
.LBB1_608:                              ;   in Loop: Header=BB1_596 Depth=2
	s_and_not1_b32 vcc_lo, exec_lo, s0
	s_cbranch_vccnz .LBB1_606
.LBB1_609:                              ;   in Loop: Header=BB1_596 Depth=2
	v_dual_mov_b32 v11, 64 :: v_dual_ashrrev_i32 v4, 31, v8
	s_lshl_b32 s0, s6, 2
	s_delay_alu instid0(VALU_DEP_1) | instskip(NEXT) | instid1(VALU_DEP_1)
	v_lshrrev_b32_e32 v4, 30, v4
	v_add_nc_u32_e32 v4, v8, v4
	s_delay_alu instid0(VALU_DEP_1) | instskip(NEXT) | instid1(VALU_DEP_1)
	v_dual_ashrrev_i32 v9, 2, v4 :: v_dual_bitop2_b32 v5, -4, v4 bitop3:0x40
	v_dual_mov_b32 v4, s0 :: v_dual_sub_nc_u32 v10, v8, v5
	v_cmp_eq_u32_e64 s0, 0, v8
	s_and_saveexec_b32 s1, s0
	s_cbranch_execnz .LBB1_607
.LBB1_610:                              ;   in Loop: Header=BB1_596 Depth=2
	s_or_b32 exec_lo, exec_lo, s1
	s_delay_alu instid0(SALU_CYCLE_1)
	s_mov_b32 s7, exec_lo
	v_cmpx_lt_i32_e64 v8, v4
	s_cbranch_execz .LBB1_618
.LBB1_611:                              ;   in Loop: Header=BB1_596 Depth=2
	ds_load_u8 v4, v41 offset:16536
	v_dual_add_nc_u32 v5, v46, v9 :: v_dual_lshlrev_b32 v12, 4, v10
	ds_load_u8 v14, v5
	s_wait_dscnt 0x1
	v_cmp_ne_u32_e64 s1, 0, v4
	s_and_b32 vcc_lo, exec_lo, s1
	s_cbranch_vccz .LBB1_614
; %bb.612:                              ;   in Loop: Header=BB1_596 Depth=2
	s_and_b32 vcc_lo, exec_lo, s1
	s_mov_b32 s1, -1
                                        ; implicit-def: $vgpr4_vgpr5_vgpr6_vgpr7
                                        ; implicit-def: $vgpr13
	s_cbranch_vccz .LBB1_615
.LBB1_613:                              ;   in Loop: Header=BB1_596 Depth=2
	ds_load_b32 v6, v41 offset:16540
	ds_load_b64 v[4:5], v41 offset:16544
	s_wait_dscnt 0x2
	v_mul_u32_u24_e32 v7, v11, v14
	v_lshlrev_b32_e32 v13, 4, v10
	s_delay_alu instid0(VALU_DEP_1) | instskip(SKIP_1) | instid1(VALU_DEP_1)
	v_add3_u32 v7, v13, s5, v7
	s_wait_dscnt 0x1
	v_and_b32_e32 v6, v6, v7
	s_wait_dscnt 0x0
	v_readfirstlane_b32 s10, v4
	v_readfirstlane_b32 s11, v5
	flat_load_b128 v[4:7], v6, s[10:11]
	s_cbranch_execz .LBB1_616
	s_branch .LBB1_617
.LBB1_614:                              ;   in Loop: Header=BB1_596 Depth=2
	s_wait_dscnt 0x0
	v_mul_u32_u24_e32 v0, v11, v14
	v_lshlrev_b32_e32 v1, 4, v10
	s_delay_alu instid0(VALU_DEP_1)
	v_add3_u32 v0, v1, s5, v0
	global_load_b128 v[0:3], v0, s[36:37]
	s_and_b32 vcc_lo, exec_lo, s1
	s_mov_b32 s1, -1
                                        ; implicit-def: $vgpr4_vgpr5_vgpr6_vgpr7
                                        ; implicit-def: $vgpr13
	s_cbranch_vccnz .LBB1_613
.LBB1_615:                              ;   in Loop: Header=BB1_596 Depth=2
	s_and_not1_b32 vcc_lo, exec_lo, s1
	s_cbranch_vccnz .LBB1_617
.LBB1_616:                              ;   in Loop: Header=BB1_596 Depth=2
	s_wait_loadcnt_dscnt 0x0
	v_mov_b64_e32 v[6:7], v[2:3]
	v_mov_b64_e32 v[4:5], v[0:1]
	v_mov_b32_e32 v13, v12
.LBB1_617:                              ;   in Loop: Header=BB1_596 Depth=2
	s_wait_loadcnt 0x0
	v_add_nc_u32_e32 v0, s8, v9
	s_delay_alu instid0(VALU_DEP_1) | instskip(SKIP_1) | instid1(VALU_DEP_4)
	v_mad_u32 v9, v0, v11, v13
	s_wait_dscnt 0x0
	v_mov_b64_e32 v[0:1], v[4:5]
	v_mov_b64_e32 v[2:3], v[6:7]
	ds_store_b128 v9, v[4:7] offset:20176
.LBB1_618:                              ;   in Loop: Header=BB1_596 Depth=2
	s_or_b32 exec_lo, exec_lo, s7
	s_bitcmp0_b32 s4, 14
	v_readfirstlane_b32 s5, v0
	s_cselect_b32 s1, -1, 0
	s_mov_b32 s7, -1
	s_and_b32 vcc_lo, exec_lo, s1
                                        ; implicit-def: $vgpr4
	s_cbranch_vccnz .LBB1_620
; %bb.619:                              ;   in Loop: Header=BB1_596 Depth=2
	v_cmp_gt_i32_e32 vcc_lo, 64, v8
	s_and_b32 s5, s4, 0x3fff
	s_delay_alu instid0(SALU_CYCLE_1) | instskip(SKIP_1) | instid1(VALU_DEP_1)
	s_add_co_i32 s5, s5, s2
	v_cndmask_b32_e64 v4, 0, s53, vcc_lo
	v_add3_u32 v4, v8, v4, 0xffffffc0
	s_add_co_i32 s8, s6, s8
	s_cbranch_execnz .LBB1_595
	s_branch .LBB1_621
.LBB1_620:                              ;   in Loop: Header=BB1_596 Depth=2
	s_and_not1_b32 vcc_lo, exec_lo, s7
	s_add_co_i32 s8, s6, s8
	s_cbranch_vccnz .LBB1_595
.LBB1_621:                              ;   in Loop: Header=BB1_596 Depth=2
	s_and_saveexec_b32 s5, s0
	s_cbranch_execz .LBB1_594
; %bb.622:                              ;   in Loop: Header=BB1_596 Depth=2
	s_and_b32 s0, s4, 0x3fff
	v_dual_mov_b32 v4, s2 :: v_dual_mov_b32 v6, s3
	s_add_co_i32 s6, s0, s2
	s_cmp_lg_u32 s0, 0
	v_mov_b32_e32 v7, s8
	s_cselect_b32 s0, s6, -1
	s_delay_alu instid0(SALU_CYCLE_1) | instskip(SKIP_1) | instid1(SALU_CYCLE_1)
	v_dual_mov_b32 v8, 0 :: v_dual_mov_b32 v5, s0
	s_lshr_b32 s0, s4, 17
	v_mov_b32_e32 v9, s0
	ds_store_b64 v41, v[4:5] offset:17056
	ds_store_b8 v41, v6 offset:17064
	ds_store_b32 v41, v7 offset:17068
	ds_store_b16 v41, v9 offset:17066
	s_branch .LBB1_594
	.section	.rodata,"a",@progbits
	.p2align	6, 0x0
	.amdhsa_kernel _Z23ncclDevKernel_Generic_224ncclDevKernelArgsStorageILm4096EE
		.amdhsa_group_segment_fixed_size 21216
		.amdhsa_private_segment_fixed_size 16
		.amdhsa_kernarg_size 4352
		.amdhsa_user_sgpr_count 8
		.amdhsa_user_sgpr_dispatch_ptr 1
		.amdhsa_user_sgpr_queue_ptr 1
		.amdhsa_user_sgpr_kernarg_segment_ptr 1
		.amdhsa_user_sgpr_dispatch_id 1
		.amdhsa_user_sgpr_kernarg_preload_length 0
		.amdhsa_user_sgpr_kernarg_preload_offset 0
		.amdhsa_user_sgpr_private_segment_size 0
		.amdhsa_wavefront_size32 1
		.amdhsa_uses_dynamic_stack 1
		.amdhsa_enable_private_segment 1
		.amdhsa_system_sgpr_workgroup_id_x 1
		.amdhsa_system_sgpr_workgroup_id_y 1
		.amdhsa_system_sgpr_workgroup_id_z 1
		.amdhsa_system_sgpr_workgroup_info 0
		.amdhsa_system_vgpr_workitem_id 2
		.amdhsa_next_free_vgpr max(totalnumvgprs(_Z23ncclDevKernel_Generic_224ncclDevKernelArgsStorageILm4096EE.num_agpr, _Z23ncclDevKernel_Generic_224ncclDevKernelArgsStorageILm4096EE.num_vgpr), 1, 0)
		.amdhsa_next_free_sgpr max(_Z23ncclDevKernel_Generic_224ncclDevKernelArgsStorageILm4096EE.numbered_sgpr+2, 1, 0)-2
		.amdhsa_named_barrier_count (((((alignto(_Z23ncclDevKernel_Generic_224ncclDevKernelArgsStorageILm4096EE.num_named_barrier, 4)/4)<<14)&~4080)|1952)&114688)>>14
		.amdhsa_reserve_vcc 1
		.amdhsa_float_round_mode_32 0
		.amdhsa_float_round_mode_16_64 0
		.amdhsa_float_denorm_mode_32 3
		.amdhsa_float_denorm_mode_16_64 3
		.amdhsa_fp16_overflow 0
		.amdhsa_memory_ordered 1
		.amdhsa_forward_progress 1
		.amdhsa_inst_pref_size 122
		.amdhsa_round_robin_scheduling 0
		.amdhsa_exception_fp_ieee_invalid_op 0
		.amdhsa_exception_fp_denorm_src 0
		.amdhsa_exception_fp_ieee_div_zero 0
		.amdhsa_exception_fp_ieee_overflow 0
		.amdhsa_exception_fp_ieee_underflow 0
		.amdhsa_exception_fp_ieee_inexact 0
		.amdhsa_exception_int_div_zero 0
	.end_amdhsa_kernel
	.text
.Lfunc_end1:
	.size	_Z23ncclDevKernel_Generic_224ncclDevKernelArgsStorageILm4096EE, .Lfunc_end1-_Z23ncclDevKernel_Generic_224ncclDevKernelArgsStorageILm4096EE
                                        ; -- End function
	.set _Z23ncclDevKernel_Generic_224ncclDevKernelArgsStorageILm4096EE.num_vgpr, max(59, amdgpu.max_num_vgpr)
	.set _Z23ncclDevKernel_Generic_224ncclDevKernelArgsStorageILm4096EE.num_agpr, max(0, amdgpu.max_num_agpr)
	.set _Z23ncclDevKernel_Generic_224ncclDevKernelArgsStorageILm4096EE.numbered_sgpr, max(106, amdgpu.max_num_sgpr)
	.set _Z23ncclDevKernel_Generic_224ncclDevKernelArgsStorageILm4096EE.num_named_barrier, max(0, amdgpu.max_num_named_barrier)
	.set _Z23ncclDevKernel_Generic_224ncclDevKernelArgsStorageILm4096EE.private_seg_size, 16
	.set _Z23ncclDevKernel_Generic_224ncclDevKernelArgsStorageILm4096EE.uses_vcc, 1
	.set _Z23ncclDevKernel_Generic_224ncclDevKernelArgsStorageILm4096EE.uses_flat_scratch, 1
	.set _Z23ncclDevKernel_Generic_224ncclDevKernelArgsStorageILm4096EE.has_dyn_sized_stack, 1
	.set _Z23ncclDevKernel_Generic_224ncclDevKernelArgsStorageILm4096EE.has_recursion, 1
	.set _Z23ncclDevKernel_Generic_224ncclDevKernelArgsStorageILm4096EE.has_indirect_call, 1
	.section	.AMDGPU.csdata,"",@progbits
; Kernel info:
; codeLenInByte = 15524
; TotalNumSgprs: _Z23ncclDevKernel_Generic_224ncclDevKernelArgsStorageILm4096EE.numbered_sgpr+2
; NumVgprs: _Z23ncclDevKernel_Generic_224ncclDevKernelArgsStorageILm4096EE.num_vgpr
; ScratchSize: 16
; MemoryBound: 0
; FloatMode: 240
; IeeeMode: 1
; LDSByteSize: 21216 bytes/workgroup (compile time only)
; SGPRBlocks: 0
; VGPRBlocks: (alignto(max(max(totalnumvgprs(_Z23ncclDevKernel_Generic_224ncclDevKernelArgsStorageILm4096EE.num_agpr, _Z23ncclDevKernel_Generic_224ncclDevKernelArgsStorageILm4096EE.num_vgpr), 1, 0), 1), 16)/16)-1
; NumSGPRsForWavesPerEU: max(_Z23ncclDevKernel_Generic_224ncclDevKernelArgsStorageILm4096EE.numbered_sgpr+2, 1, 0)
; NumVGPRsForWavesPerEU: max(totalnumvgprs(_Z23ncclDevKernel_Generic_224ncclDevKernelArgsStorageILm4096EE.num_agpr, _Z23ncclDevKernel_Generic_224ncclDevKernelArgsStorageILm4096EE.num_vgpr), 1, 0)
; NamedBarCnt: alignto(_Z23ncclDevKernel_Generic_224ncclDevKernelArgsStorageILm4096EE.num_named_barrier, 4)/4
; Occupancy: occupancy(16, 16, 1024, 11, 16, max(_Z23ncclDevKernel_Generic_224ncclDevKernelArgsStorageILm4096EE.numbered_sgpr+extrasgprs(_Z23ncclDevKernel_Generic_224ncclDevKernelArgsStorageILm4096EE.uses_vcc, _Z23ncclDevKernel_Generic_224ncclDevKernelArgsStorageILm4096EE.uses_flat_scratch, 1), 1, 0), max(totalnumvgprs(_Z23ncclDevKernel_Generic_224ncclDevKernelArgsStorageILm4096EE.num_agpr, _Z23ncclDevKernel_Generic_224ncclDevKernelArgsStorageILm4096EE.num_vgpr), 1, 0))
; WaveLimiterHint : 0
; COMPUTE_PGM_RSRC2:SCRATCH_EN: 1
; COMPUTE_PGM_RSRC2:USER_SGPR: 8
; COMPUTE_PGM_RSRC2:TRAP_HANDLER: 0
; COMPUTE_PGM_RSRC2:TGID_X_EN: 1
; COMPUTE_PGM_RSRC2:TGID_Y_EN: 1
; COMPUTE_PGM_RSRC2:TGID_Z_EN: 1
; COMPUTE_PGM_RSRC2:TIDIG_COMP_CNT: 2
	.text
	.protected	_Z23ncclDevKernel_Generic_424ncclDevKernelArgsStorageILm4096EE ; -- Begin function _Z23ncclDevKernel_Generic_424ncclDevKernelArgsStorageILm4096EE
	.globl	_Z23ncclDevKernel_Generic_424ncclDevKernelArgsStorageILm4096EE
	.p2align	8
	.type	_Z23ncclDevKernel_Generic_424ncclDevKernelArgsStorageILm4096EE,@function
_Z23ncclDevKernel_Generic_424ncclDevKernelArgsStorageILm4096EE: ; @_Z23ncclDevKernel_Generic_424ncclDevKernelArgsStorageILm4096EE
; %bb.0:
	v_mov_b32_e32 v40, v0
	s_mov_b64 s[34:35], s[6:7]
	s_mov_b64 s[36:37], s[4:5]
	;; [unrolled: 1-line block ×4, first 2 shown]
	v_and_b32_e32 v8, 0x3ff, v40
	s_mov_b32 s0, exec_lo
	s_mov_b32 s32, 16
	s_delay_alu instid0(VALU_DEP_1)
	v_cmpx_gt_u32_e32 12, v8
	s_cbranch_execz .LBB2_2
; %bb.1:
	global_load_b32 v0, v8, s[36:37] scale_offset
	v_lshlrev_b32_e32 v1, 2, v8
	s_wait_loadcnt 0x0
	ds_store_b32 v1, v0 offset:16512
.LBB2_2:
	s_or_b32 exec_lo, exec_lo, s0
	s_load_b32 s3, s[36:37], 0x100c
	s_bfe_u32 s0, ttmp6, 0x4000c
	s_and_b32 s1, ttmp6, 15
	s_add_co_i32 s0, s0, 1
	s_getreg_b32 s2, hwreg(HW_REG_IB_STS2, 6, 4)
	s_mul_i32 s0, ttmp9, s0
	v_lshrrev_b32_e32 v9, 5, v8
	s_add_co_i32 s1, s1, s0
	s_cmp_eq_u32 s2, 0
	s_mov_b32 s0, exec_lo
	s_cselect_b32 s2, ttmp9, s1
	v_cmpx_lt_i32_e32 0, v9
	s_xor_b32 s0, exec_lo, s0
	s_cbranch_execz .LBB2_16
; %bb.3:
	s_mov_b32 s1, exec_lo
	v_cmpx_lt_i32_e32 2, v9
	s_xor_b32 s1, exec_lo, s1
	s_cbranch_execz .LBB2_8
; %bb.4:
	s_mov_b32 s4, exec_lo
	v_cmpx_eq_u32_e32 3, v9
	s_cbranch_execz .LBB2_7
; %bb.5:
	v_cmp_eq_u32_e32 vcc_lo, 0x60, v8
	s_and_b32 exec_lo, exec_lo, vcc_lo
; %bb.6:
	v_mov_b32_e32 v0, 0
	ds_store_b32 v0, v0 offset:16564
.LBB2_7:
	s_or_b32 exec_lo, exec_lo, s4
.LBB2_8:
	s_and_not1_saveexec_b32 s1, s1
	s_cbranch_execz .LBB2_15
; %bb.9:
	s_mov_b32 s4, exec_lo
	v_cmpx_eq_u32_e32 1, v9
	s_cbranch_execz .LBB2_14
; %bb.10:
	v_cmp_gt_u32_e32 vcc_lo, 40, v8
	s_and_b32 exec_lo, exec_lo, vcc_lo
	s_cbranch_execz .LBB2_14
; %bb.11:
	s_mov_b32 s5, exec_lo
	v_cmpx_eq_u32_e32 32, v8
; %bb.12:
	v_mov_b64_e32 v[0:1], 0
	v_mov_b32_e32 v2, 0
	ds_store_b64 v2, v[0:1] offset:21208
; %bb.13:
	s_or_b32 exec_lo, exec_lo, s5
	v_mov_b64_e32 v[0:1], 0
	v_mul_u32_u24_e32 v2, 0x160, v8
	ds_store_b64 v2, v[0:1] offset:6104
.LBB2_14:
	s_or_b32 exec_lo, exec_lo, s4
.LBB2_15:
	s_delay_alu instid0(SALU_CYCLE_1)
	s_or_b32 exec_lo, exec_lo, s1
.LBB2_16:
	s_and_not1_saveexec_b32 s6, s0
	s_cbranch_execz .LBB2_32
; %bb.17:
	s_load_b64 s[0:1], s[36:37], 0x8
	v_lshlrev_b64_e64 v[0:1], v8, 1
	s_mov_b32 s7, 0
	s_mov_b32 s5, exec_lo
	s_wait_kmcnt 0x0
	s_delay_alu instid0(VALU_DEP_1) | instskip(NEXT) | instid1(VALU_DEP_2)
	v_and_b32_e32 v3, s1, v1
	v_and_b32_e32 v2, s0, v0
	s_delay_alu instid0(VALU_DEP_1)
	v_cmp_eq_u64_e64 s4, 0, v[2:3]
	v_cmpx_ne_u64_e32 0, v[2:3]
	s_cbranch_execz .LBB2_19
; %bb.18:
	v_add_nc_u64_e32 v[0:1], -1, v[0:1]
	s_and_not1_b32 s4, s4, exec_lo
	s_mov_b32 s7, exec_lo
	s_delay_alu instid0(VALU_DEP_1) | instskip(NEXT) | instid1(VALU_DEP_2)
	v_and_b32_e32 v0, s0, v0
	v_and_b32_e32 v1, s1, v1
	s_delay_alu instid0(VALU_DEP_2) | instskip(NEXT) | instid1(VALU_DEP_1)
	v_bcnt_u32_b32 v0, v0, 0
	v_bcnt_u32_b32 v0, v1, v0
	s_delay_alu instid0(VALU_DEP_1) | instskip(SKIP_1) | instid1(SALU_CYCLE_1)
	v_cmp_ne_u32_e32 vcc_lo, s2, v0
	s_and_b32 s8, vcc_lo, exec_lo
	s_or_b32 s4, s4, s8
.LBB2_19:
	s_or_b32 exec_lo, exec_lo, s5
	v_dual_mov_b32 v0, 0 :: v_dual_mov_b32 v4, v8
	s_and_saveexec_b32 s8, s4
	s_cbranch_execz .LBB2_29
; %bb.20:
	v_add_nc_u32_e32 v4, 32, v8
	s_mov_b32 s5, exec_lo
	s_delay_alu instid0(VALU_DEP_1) | instskip(NEXT) | instid1(VALU_DEP_1)
	v_lshlrev_b64_e64 v[2:3], v4, 1
	v_and_b32_e32 v7, s1, v3
	s_delay_alu instid0(VALU_DEP_2) | instskip(SKIP_1) | instid1(VALU_DEP_2)
	v_and_b32_e32 v6, s0, v2
	v_add_nc_u64_e32 v[0:1], -1, v[2:3]
	v_cmp_eq_u64_e64 s4, 0, v[6:7]
	v_cmpx_ne_u64_e32 0, v[6:7]
	s_cbranch_execz .LBB2_24
; %bb.21:
	v_and_b32_e32 v5, s0, v0
	v_and_b32_e32 v6, s1, v1
	s_mov_b32 s9, -1
	s_mov_b32 s10, exec_lo
	s_delay_alu instid0(VALU_DEP_2) | instskip(NEXT) | instid1(VALU_DEP_1)
	v_bcnt_u32_b32 v5, v5, 0
	v_bcnt_u32_b32 v6, v6, v5
	v_mov_b32_e32 v5, 0
	s_delay_alu instid0(VALU_DEP_2)
	v_cmpx_eq_u32_e64 s2, v6
; %bb.22:
	s_xor_b32 s9, exec_lo, -1
	ds_store_b32 v5, v4 offset:16560
; %bb.23:
	s_or_b32 exec_lo, exec_lo, s10
	s_delay_alu instid0(SALU_CYCLE_1) | instskip(SKIP_1) | instid1(SALU_CYCLE_1)
	s_and_not1_b32 s4, s4, exec_lo
	s_and_b32 s9, s9, exec_lo
	s_or_b32 s4, s4, s9
.LBB2_24:
	s_or_b32 exec_lo, exec_lo, s5
	s_mov_b32 s5, 0
                                        ; implicit-def: $sgpr10
	s_and_saveexec_b32 s9, s4
	s_cbranch_execz .LBB2_28
; %bb.25:
	s_load_b64 s[4:5], s[36:37], 0x10
	s_mov_b32 s12, 0
	s_mov_b32 s11, exec_lo
                                        ; implicit-def: $sgpr10
	s_wait_kmcnt 0x0
	v_and_b32_e32 v3, s5, v3
	v_and_b32_e32 v2, s4, v2
	s_delay_alu instid0(VALU_DEP_1)
	v_cmpx_ne_u64_e32 0, v[2:3]
	s_xor_b32 s11, exec_lo, s11
	s_cbranch_execz .LBB2_27
; %bb.26:
	v_and_b32_e32 v0, s4, v0
	s_bcnt1_i32_b64 s10, s[0:1]
	v_and_b32_e32 v1, s5, v1
	s_delay_alu instid0(VALU_DEP_2) | instskip(NEXT) | instid1(VALU_DEP_1)
	v_bcnt_u32_b32 v0, v0, 0
	v_bcnt_u32_b32 v0, v1, v0
	s_delay_alu instid0(VALU_DEP_1) | instskip(NEXT) | instid1(VALU_DEP_1)
	v_add_nc_u32_e32 v0, s10, v0
	v_cmp_eq_u32_e32 vcc_lo, s2, v0
	s_and_b32 s12, vcc_lo, exec_lo
.LBB2_27:
	s_or_b32 exec_lo, exec_lo, s11
	s_delay_alu instid0(SALU_CYCLE_1)
	s_and_b32 s5, s12, exec_lo
.LBB2_28:
	s_or_b32 exec_lo, exec_lo, s9
	v_mov_b32_e32 v0, s10
	s_and_not1_b32 s0, s7, exec_lo
	s_and_b32 s1, s5, exec_lo
	s_delay_alu instid0(SALU_CYCLE_1)
	s_or_b32 s7, s0, s1
.LBB2_29:
	s_or_b32 exec_lo, exec_lo, s8
	s_and_saveexec_b32 s0, s7
; %bb.30:
	v_dual_mov_b32 v1, 0 :: v_dual_add_nc_u32 v0, v0, v4
	ds_store_b32 v1, v0 offset:16560
; %bb.31:
	s_or_b32 exec_lo, exec_lo, s0
.LBB2_32:
	s_delay_alu instid0(SALU_CYCLE_1)
	s_or_b32 exec_lo, exec_lo, s6
	v_cmp_eq_u32_e64 s33, 0, v8
	s_wait_dscnt 0x0
	s_barrier_signal -1
	s_barrier_wait -1
	s_and_saveexec_b32 s0, s33
	s_cbranch_execz .LBB2_34
; %bb.33:
	v_mov_b32_e32 v4, 0
	ds_load_b32 v0, v4 offset:16560
	ds_load_b64 v[2:3], v4 offset:16512
	s_wait_dscnt 0x1
	v_ashrrev_i32_e32 v1, 31, v0
	s_delay_alu instid0(VALU_DEP_1) | instskip(SKIP_1) | instid1(VALU_DEP_1)
	v_mul_u64_e32 v[0:1], 0x180, v[0:1]
	s_wait_dscnt 0x0
	v_add_nc_u64_e32 v[0:1], v[2:3], v[0:1]
	flat_load_b64 v[0:1], v[0:1] offset:464
	ds_store_b32 v4, v4 offset:16564
	s_wait_loadcnt_dscnt 0x1
	ds_store_b64 v4, v[0:1] offset:17040
.LBB2_34:
	s_or_b32 exec_lo, exec_lo, s0
	s_wait_kmcnt 0x0
	s_and_b32 s53, 0xffff, s3
	s_mov_b32 s0, exec_lo
	v_cmpx_lt_i32_e32 0, v9
	s_xor_b32 s6, exec_lo, s0
	s_cbranch_execz .LBB2_71
; %bb.35:
	s_mov_b32 s0, exec_lo
	v_cmpx_ne_u32_e32 1, v9
	s_xor_b32 s7, exec_lo, s0
	s_cbranch_execz .LBB2_66
; %bb.36:
	v_subrev_nc_u32_e32 v16, 64, v8
	v_mul_u32_u24_e32 v11, 0x810, v9
	v_mov_b32_e32 v15, 0
	s_sub_co_i32 s8, s53, 64
	s_mov_b32 s9, 0
	v_lshrrev_b16 v0, 11, v16
	s_delay_alu instid0(VALU_DEP_1) | instskip(NEXT) | instid1(VALU_DEP_1)
	v_add_nc_u16 v0, v16, v0
	v_and_b32_e32 v0, 0xffffffe0, v0
	s_delay_alu instid0(VALU_DEP_1) | instskip(NEXT) | instid1(VALU_DEP_1)
	v_sub_nc_u16 v10, v16, v0
	v_and_b32_e32 v0, 0xffff, v10
	v_add_nc_u16 v12, v10, 32
	s_delay_alu instid0(VALU_DEP_2)
	v_lshlrev_b32_e64 v13, v0, 1
	v_bfm_b32 v14, v0, 0
                                        ; implicit-def: $vgpr0_vgpr1_vgpr2_vgpr3
	s_branch .LBB2_39
.LBB2_37:                               ;   in Loop: Header=BB2_39 Depth=1
	s_or_b32 exec_lo, exec_lo, s5
	v_mov_b32_e32 v4, v16
	s_mov_b32 s5, s2
.LBB2_38:                               ;   in Loop: Header=BB2_39 Depth=1
	s_delay_alu instid0(VALU_DEP_1)
	v_mov_b32_e32 v16, v4
	s_and_not1_b32 vcc_lo, exec_lo, s1
	s_mov_b32 s2, s5
	s_cbranch_vccz .LBB2_66
.LBB2_39:                               ; =>This Inner Loop Header: Depth=1
	s_ashr_i32 s3, s2, 31
	s_delay_alu instid0(SALU_CYCLE_1)
	s_lshl_b64 s[0:1], s[2:3], 4
	s_mov_b32 s3, exec_lo
	s_add_nc_u64 s[4:5], s[36:37], s[0:1]
	s_load_b64 s[0:1], s[4:5], 0x38
	s_wait_kmcnt 0x0
	v_and_b32_e32 v4, s0, v13
	s_delay_alu instid0(VALU_DEP_1)
	v_cmpx_ne_u32_e32 0, v4
; %bb.40:                               ;   in Loop: Header=BB2_39 Depth=1
	v_and_b32_e32 v4, s0, v14
	s_delay_alu instid0(VALU_DEP_1)
	v_bcnt_u32_b32 v4, v4, v11
	ds_store_b8 v4, v10
; %bb.41:                               ;   in Loop: Header=BB2_39 Depth=1
	s_or_b32 exec_lo, exec_lo, s3
	s_wait_xcnt 0x0
	s_load_b64 s[4:5], s[4:5], 0x30
	v_and_b32_e32 v4, s1, v13
	s_bcnt1_i32_b32 s0, s0
	s_mov_b32 s3, exec_lo
	s_delay_alu instid0(VALU_DEP_1)
	v_cmpx_ne_u32_e32 0, v4
	s_cbranch_execz .LBB2_43
; %bb.42:                               ;   in Loop: Header=BB2_39 Depth=1
	v_and_b32_e32 v4, s1, v14
	s_delay_alu instid0(VALU_DEP_1) | instskip(NEXT) | instid1(VALU_DEP_1)
	v_bcnt_u32_b32 v4, v4, 0
	v_add3_u32 v4, v11, s0, v4
	ds_store_b8 v4, v12
.LBB2_43:                               ;   in Loop: Header=BB2_39 Depth=1
	s_or_b32 exec_lo, exec_lo, s3
	s_bcnt1_i32_b32 s10, s1
	s_wait_kmcnt 0x0
	s_bfe_u32 s3, s4, 0x2000f
	s_add_co_i32 s10, s10, s0
	s_cmp_lt_i32 s3, 1
	s_mov_b32 s0, -1
                                        ; implicit-def: $vgpr17
                                        ; implicit-def: $vgpr18
                                        ; implicit-def: $vgpr4
                                        ; implicit-def: $vgpr19
	s_cbranch_scc1 .LBB2_51
; %bb.44:                               ;   in Loop: Header=BB2_39 Depth=1
	s_cmp_lg_u32 s3, 1
                                        ; implicit-def: $vgpr17
                                        ; implicit-def: $vgpr18
                                        ; implicit-def: $vgpr4
	s_cbranch_scc0 .LBB2_46
; %bb.45:                               ;   in Loop: Header=BB2_39 Depth=1
	v_mul_hi_i32 v4, 0x66666667, v16
	s_mov_b32 s0, 0
	s_delay_alu instid0(VALU_DEP_1) | instskip(NEXT) | instid1(VALU_DEP_1)
	v_dual_lshrrev_b32 v5, 31, v4 :: v_dual_ashrrev_i32 v4, 3, v4
	v_add_nc_u32_e32 v17, v4, v5
	v_mul_u32_u24_e64 v4, s10, 20
	s_delay_alu instid0(VALU_DEP_2) | instskip(NEXT) | instid1(VALU_DEP_1)
	v_mul_lo_u32 v5, v17, 20
	v_sub_nc_u32_e32 v18, v16, v5
.LBB2_46:                               ;   in Loop: Header=BB2_39 Depth=1
	s_and_not1_b32 vcc_lo, exec_lo, s0
	s_movk_i32 s0, 0x140
	s_cbranch_vccnz .LBB2_48
; %bb.47:                               ;   in Loop: Header=BB2_39 Depth=1
	v_ashrrev_i32_e32 v4, 31, v16
	s_lshl_b32 s0, s10, 3
	s_delay_alu instid0(VALU_DEP_1) | instskip(NEXT) | instid1(VALU_DEP_1)
	v_lshrrev_b32_e32 v4, 29, v4
	v_add_nc_u32_e32 v4, v16, v4
	s_delay_alu instid0(VALU_DEP_1) | instskip(SKIP_2) | instid1(VALU_DEP_2)
	v_dual_ashrrev_i32 v17, 3, v4 :: v_dual_bitop2_b32 v5, -8, v4 bitop3:0x40
	v_mov_b32_e32 v4, s0
	s_movk_i32 s0, 0x80
	v_sub_nc_u32_e32 v18, v16, v5
.LBB2_48:                               ;   in Loop: Header=BB2_39 Depth=1
	v_mov_b32_e32 v19, s0
	s_cbranch_execz .LBB2_52
.LBB2_49:                               ;   in Loop: Header=BB2_39 Depth=1
	v_cmp_eq_u32_e64 s0, 0, v16
	s_and_saveexec_b32 s1, s0
	s_cbranch_execz .LBB2_53
.LBB2_50:                               ;   in Loop: Header=BB2_39 Depth=1
	ds_store_b32 v15, v19 offset:17072
	s_or_b32 exec_lo, exec_lo, s1
	s_delay_alu instid0(SALU_CYCLE_1)
	s_mov_b32 s11, exec_lo
	v_cmpx_lt_i32_e64 v16, v4
	s_cbranch_execz .LBB2_61
	s_branch .LBB2_54
.LBB2_51:                               ;   in Loop: Header=BB2_39 Depth=1
	s_and_not1_b32 vcc_lo, exec_lo, s0
	s_cbranch_vccnz .LBB2_49
.LBB2_52:                               ;   in Loop: Header=BB2_39 Depth=1
	v_dual_mov_b32 v19, 64 :: v_dual_ashrrev_i32 v4, 31, v16
	s_lshl_b32 s0, s10, 2
	s_delay_alu instid0(VALU_DEP_1) | instskip(NEXT) | instid1(VALU_DEP_1)
	v_lshrrev_b32_e32 v4, 30, v4
	v_add_nc_u32_e32 v4, v16, v4
	s_delay_alu instid0(VALU_DEP_1) | instskip(NEXT) | instid1(VALU_DEP_1)
	v_dual_ashrrev_i32 v17, 2, v4 :: v_dual_bitop2_b32 v5, -4, v4 bitop3:0x40
	v_dual_mov_b32 v4, s0 :: v_dual_sub_nc_u32 v18, v16, v5
	v_cmp_eq_u32_e64 s0, 0, v16
	s_and_saveexec_b32 s1, s0
	s_cbranch_execnz .LBB2_50
.LBB2_53:                               ;   in Loop: Header=BB2_39 Depth=1
	s_or_b32 exec_lo, exec_lo, s1
	s_delay_alu instid0(SALU_CYCLE_1)
	s_mov_b32 s11, exec_lo
	v_cmpx_lt_i32_e64 v16, v4
	s_cbranch_execz .LBB2_61
.LBB2_54:                               ;   in Loop: Header=BB2_39 Depth=1
	ds_load_u8 v4, v15 offset:16536
	v_add_nc_u32_e32 v5, v11, v17
	ds_load_u8 v21, v5
	s_wait_dscnt 0x1
	v_cmp_ne_u32_e64 s1, 0, v4
	s_and_b32 vcc_lo, exec_lo, s1
	s_cbranch_vccz .LBB2_57
; %bb.55:                               ;   in Loop: Header=BB2_39 Depth=1
	s_and_b32 vcc_lo, exec_lo, s1
	s_mov_b32 s1, -1
                                        ; implicit-def: $vgpr4_vgpr5_vgpr6_vgpr7
                                        ; implicit-def: $vgpr20
	s_cbranch_vccz .LBB2_58
.LBB2_56:                               ;   in Loop: Header=BB2_39 Depth=1
	ds_load_b32 v6, v15 offset:16540
	ds_load_b64 v[4:5], v15 offset:16544
	s_wait_dscnt 0x2
	v_mul_u32_u24_e32 v7, v19, v21
	v_lshlrev_b32_e32 v20, 4, v18
	s_delay_alu instid0(VALU_DEP_1) | instskip(SKIP_1) | instid1(VALU_DEP_1)
	v_add3_u32 v7, v20, s5, v7
	s_wait_dscnt 0x1
	v_and_b32_e32 v6, v6, v7
	s_wait_dscnt 0x0
	v_readfirstlane_b32 s12, v4
	v_readfirstlane_b32 s13, v5
	flat_load_b128 v[4:7], v6, s[12:13]
	s_cbranch_execz .LBB2_59
	s_branch .LBB2_60
.LBB2_57:                               ;   in Loop: Header=BB2_39 Depth=1
	s_wait_dscnt 0x0
	v_mul_u32_u24_e32 v0, v19, v21
	v_lshlrev_b32_e32 v1, 4, v18
	s_delay_alu instid0(VALU_DEP_1)
	v_add3_u32 v0, v1, s5, v0
	global_load_b128 v[0:3], v0, s[36:37]
	s_and_b32 vcc_lo, exec_lo, s1
	s_mov_b32 s1, -1
                                        ; implicit-def: $vgpr4_vgpr5_vgpr6_vgpr7
                                        ; implicit-def: $vgpr20
	s_cbranch_vccnz .LBB2_56
.LBB2_58:                               ;   in Loop: Header=BB2_39 Depth=1
	s_and_not1_b32 vcc_lo, exec_lo, s1
	s_cbranch_vccnz .LBB2_60
.LBB2_59:                               ;   in Loop: Header=BB2_39 Depth=1
	s_wait_loadcnt_dscnt 0x0
	s_wait_xcnt 0x0
	v_mov_b64_e32 v[6:7], v[2:3]
	v_mov_b64_e32 v[4:5], v[0:1]
	v_lshlrev_b32_e32 v20, 4, v18
.LBB2_60:                               ;   in Loop: Header=BB2_39 Depth=1
	s_wait_loadcnt 0x0
	s_wait_xcnt 0x0
	v_add_nc_u32_e32 v0, s9, v17
	s_delay_alu instid0(VALU_DEP_1)
	v_mad_u32 v17, v0, v19, v20
	s_wait_dscnt 0x0
	v_mov_b64_e32 v[0:1], v[4:5]
	v_mov_b64_e32 v[2:3], v[6:7]
	ds_store_b128 v17, v[4:7] offset:20176
.LBB2_61:                               ;   in Loop: Header=BB2_39 Depth=1
	s_or_b32 exec_lo, exec_lo, s11
	s_bitcmp0_b32 s4, 14
	s_wait_xcnt 0x0
	v_readfirstlane_b32 s5, v0
	s_cselect_b32 s1, -1, 0
	s_mov_b32 s11, -1
	s_and_b32 vcc_lo, exec_lo, s1
                                        ; implicit-def: $vgpr4
	s_cbranch_vccnz .LBB2_63
; %bb.62:                               ;   in Loop: Header=BB2_39 Depth=1
	v_cmp_gt_i32_e32 vcc_lo, 64, v16
	s_and_b32 s5, s4, 0x3fff
	s_delay_alu instid0(SALU_CYCLE_1) | instskip(SKIP_1) | instid1(VALU_DEP_1)
	s_add_co_i32 s5, s5, s2
	v_cndmask_b32_e64 v4, 0, s8, vcc_lo
	v_add3_u32 v4, v16, v4, 0xffffffc0
	s_add_co_i32 s9, s10, s9
	s_cbranch_execnz .LBB2_38
	s_branch .LBB2_64
.LBB2_63:                               ;   in Loop: Header=BB2_39 Depth=1
	s_and_not1_b32 vcc_lo, exec_lo, s11
	s_add_co_i32 s9, s10, s9
	s_cbranch_vccnz .LBB2_38
.LBB2_64:                               ;   in Loop: Header=BB2_39 Depth=1
	s_and_saveexec_b32 s5, s0
	s_cbranch_execz .LBB2_37
; %bb.65:                               ;   in Loop: Header=BB2_39 Depth=1
	s_and_b32 s0, s4, 0x3fff
	v_dual_mov_b32 v4, s2 :: v_dual_mov_b32 v6, s3
	s_add_co_i32 s10, s0, s2
	s_cmp_lg_u32 s0, 0
	v_mov_b32_e32 v7, s9
	s_cselect_b32 s0, s10, -1
	s_delay_alu instid0(SALU_CYCLE_1) | instskip(SKIP_1) | instid1(SALU_CYCLE_1)
	v_dual_mov_b32 v16, 0 :: v_dual_mov_b32 v5, s0
	s_lshr_b32 s0, s4, 17
	v_mov_b32_e32 v17, s0
	ds_store_b64 v15, v[4:5] offset:17056
	ds_store_b8 v15, v6 offset:17064
	ds_store_b32 v15, v7 offset:17068
	ds_store_b16 v15, v17 offset:17066
	s_branch .LBB2_37
.LBB2_66:
	s_and_not1_saveexec_b32 s0, s7
	s_cbranch_execz .LBB2_70
; %bb.67:
	s_mov_b32 s1, exec_lo
	v_cmpx_gt_u32_e32 56, v8
	s_cbranch_execz .LBB2_69
; %bb.68:
	v_dual_mov_b32 v2, 0 :: v_dual_lshlrev_b32 v4, 4, v8
	ds_load_b32 v0, v2 offset:16560
	s_wait_dscnt 0x0
	v_ashrrev_i32_e32 v1, 31, v0
	ds_load_b64 v[2:3], v2 offset:16512
	v_mul_u64_e32 v[0:1], 0x180, v[0:1]
	s_wait_dscnt 0x0
	s_delay_alu instid0(VALU_DEP_1) | instskip(NEXT) | instid1(VALU_DEP_1)
	v_add_nc_u64_e32 v[0:1], v[2:3], v[0:1]
	v_readfirstlane_b32 s2, v0
	s_delay_alu instid0(VALU_DEP_2)
	v_readfirstlane_b32 s3, v1
	flat_load_b128 v[0:3], v8, s[2:3] offset:-416 scale_offset
	s_wait_loadcnt_dscnt 0x0
	ds_store_b128 v4, v[0:3] offset:16160
.LBB2_69:
	s_or_b32 exec_lo, exec_lo, s1
.LBB2_70:
	s_delay_alu instid0(SALU_CYCLE_1)
	s_or_b32 exec_lo, exec_lo, s0
.LBB2_71:
	s_and_not1_saveexec_b32 s0, s6
	s_cbranch_execz .LBB2_75
; %bb.72:
	s_mov_b32 s1, exec_lo
	v_cmpx_gt_u32_e32 6, v8
	s_cbranch_execz .LBB2_74
; %bb.73:
	v_dual_mov_b32 v0, 0 :: v_dual_lshlrev_b32 v4, 4, v8
	ds_load_b64 v[0:1], v0 offset:16512
	s_wait_dscnt 0x0
	v_readfirstlane_b32 s2, v0
	v_readfirstlane_b32 s3, v1
	flat_load_b128 v[0:3], v8, s[2:3] scale_offset
	s_wait_loadcnt_dscnt 0x0
	ds_store_b128 v4, v[0:3] offset:16576
.LBB2_74:
	s_or_b32 exec_lo, exec_lo, s1
.LBB2_75:
	s_delay_alu instid0(SALU_CYCLE_1)
	s_or_b32 exec_lo, exec_lo, s0
	v_mov_b32_e32 v41, 0
	s_wait_dscnt 0x0
	s_barrier_signal -1
	s_barrier_wait -1
	ds_load_b32 v0, v41 offset:16564
	s_wait_dscnt 0x0
	v_cmp_ne_u32_e32 vcc_lo, 0, v0
	s_cbranch_vccz .LBB2_88
.LBB2_76:
	s_and_saveexec_b32 s0, s33
	s_cbranch_execz .LBB2_87
; %bb.77:
	v_mov_b32_e32 v8, 0
	ds_load_b32 v2, v8 offset:17068
	ds_load_b64 v[4:5], v8 offset:17040
	s_wait_dscnt 0x1
	v_ashrrev_i32_e32 v3, 31, v2
	s_wait_dscnt 0x0
	v_add_nc_u64_e32 v[0:1], 1, v[4:5]
	s_delay_alu instid0(VALU_DEP_2) | instskip(NEXT) | instid1(VALU_DEP_1)
	v_add_nc_u64_e32 v[6:7], v[4:5], v[2:3]
	v_cmp_gt_u64_e32 vcc_lo, v[0:1], v[6:7]
	s_cbranch_vccnz .LBB2_86
; %bb.78:
	ds_load_u8 v9, v8 offset:17064
	s_movk_i32 s0, 0x4f0e
	s_movk_i32 s1, 0x4eda
	s_branch .LBB2_80
.LBB2_79:                               ;   in Loop: Header=BB2_80 Depth=1
	s_wait_dscnt 0x0
	v_ashrrev_i32_e32 v3, 31, v2
	v_add_nc_u64_e32 v[0:1], 1, v[0:1]
	s_add_co_i32 s0, s0, 64
	s_addk_co_i32 s1, 0x80
	s_delay_alu instid0(VALU_DEP_2) | instskip(NEXT) | instid1(VALU_DEP_1)
	v_add_nc_u64_e32 v[6:7], v[4:5], v[2:3]
	v_cmp_le_u64_e32 vcc_lo, v[0:1], v[6:7]
	s_cbranch_vccz .LBB2_86
.LBB2_80:                               ; =>This Inner Loop Header: Depth=1
	s_wait_dscnt 0x0
	v_and_b32_e32 v3, 0xff, v9
	s_delay_alu instid0(VALU_DEP_1)
	v_cmp_ne_u32_e32 vcc_lo, 0, v3
	s_cbranch_vccz .LBB2_85
; %bb.81:                               ;   in Loop: Header=BB2_80 Depth=1
	v_mov_b32_e32 v3, s1
	ds_load_u8 v3, v3
	s_wait_dscnt 0x0
	v_and_b32_e32 v3, 1, v3
	s_cbranch_execnz .LBB2_83
.LBB2_82:                               ;   in Loop: Header=BB2_80 Depth=1
	v_mov_b32_e32 v3, s0
	ds_load_u16 v3, v3
	s_wait_dscnt 0x0
	v_bfe_u32 v3, v3, 6, 1
.LBB2_83:                               ;   in Loop: Header=BB2_80 Depth=1
	s_delay_alu instid0(VALU_DEP_1)
	v_cmp_eq_u32_e32 vcc_lo, 0, v3
	s_cbranch_vccnz .LBB2_79
; %bb.84:                               ;   in Loop: Header=BB2_80 Depth=1
	s_sendmsg_rtn_b64 s[2:3], sendmsg(MSG_RTN_GET_REALTIME)
	ds_load_u8 v9, v8 offset:17064
	ds_load_b32 v2, v8 offset:16560
	ds_load_b64 v[4:5], v8 offset:16664
	s_wait_dscnt 0x1
	v_dual_ashrrev_i32 v3, 31, v2 :: v_dual_bitop2_b32 v6, 63, v0 bitop3:0x40
	s_delay_alu instid0(VALU_DEP_1) | instskip(SKIP_1) | instid1(VALU_DEP_1)
	v_lshlrev_b64_e32 v[2:3], 10, v[2:3]
	s_wait_dscnt 0x0
	v_add_nc_u64_e32 v[4:5], v[4:5], v[2:3]
	s_wait_kmcnt 0x0
	v_dual_mov_b32 v2, s2 :: v_dual_mov_b32 v3, s3
	s_delay_alu instid0(VALU_DEP_2) | instskip(NEXT) | instid1(VALU_DEP_3)
	v_readfirstlane_b32 s2, v4
	v_readfirstlane_b32 s3, v5
	flat_store_b128 v6, v[0:3], s[2:3] scale_offset
	ds_load_b64 v[4:5], v8 offset:17040
	s_wait_xcnt 0x0
	ds_load_b32 v2, v8 offset:17068
	s_branch .LBB2_79
.LBB2_85:                               ;   in Loop: Header=BB2_80 Depth=1
                                        ; implicit-def: $vgpr3
	s_branch .LBB2_82
.LBB2_86:
	v_mov_b32_e32 v4, 0
	ds_load_b32 v0, v4 offset:16560
	ds_load_b64 v[2:3], v4 offset:16512
	s_wait_dscnt 0x1
	v_ashrrev_i32_e32 v1, 31, v0
	ds_store_b64 v4, v[6:7] offset:17040
	v_mul_u64_e32 v[0:1], 0x180, v[0:1]
	s_wait_dscnt 0x1
	s_delay_alu instid0(VALU_DEP_1)
	v_add_nc_u64_e32 v[0:1], v[2:3], v[0:1]
	flat_store_b64 v[0:1], v[6:7] offset:464
.LBB2_87:
	s_endpgm
.LBB2_88:
	s_get_pc_i64 s[2:3]
	s_add_nc_u64 s[2:3], s[2:3], _Z50ncclDevFunc_AlltoAllPivot_RING_SIMPLE_Sum_i8_0_0_4v@rel64+4
                                        ; implicit-def: $vgpr58 : SGPR spill to VGPR lane
	v_and_b32_e32 v44, 31, v8
	v_writelane_b32 v58, s2, 0
	s_movk_i32 s1, 0x160
	v_cmp_eq_u32_e64 s52, 32, v8
	v_mad_u32_u24 v45, v8, s1, 0x17d8
	v_mul_u32_u24_e32 v46, 0x810, v9
	v_writelane_b32 v58, s3, 1
	s_get_pc_i64 s[2:3]
	s_add_nc_u64 s[2:3], s[2:3], _Z45ncclDevFunc_SendRecv_RING_SIMPLE_Sum_i8_0_0_4v@rel64+4
	v_lshlrev_b32_e64 v47, v8, 1
	v_bfm_b32 v56, v44, 0
	v_or_b32_e32 v57, 32, v44
	v_writelane_b32 v58, s2, 2
	v_cmp_eq_u32_e32 vcc_lo, 1, v9
	v_cmp_gt_u32_e64 s0, 40, v8
	s_get_pc_i64 s[64:65]
	s_add_nc_u64 s[64:65], s[64:65], _Z52ncclDevFunc_AllReduce_RING_SIMPLE_PreMulSum_u8_0_0_4v@rel64+4
	s_get_pc_i64 s[66:67]
	s_add_nc_u64 s[66:67], s[66:67], _Z53ncclDevFunc_AllReduce_RING_SIMPLE_MinMax_f8e5m2_0_0_4v@rel64+4
	v_writelane_b32 v58, s3, 3
	s_get_pc_i64 s[2:3]
	s_add_nc_u64 s[2:3], s[2:3], _Z54ncclDevFunc_AllReduce_RING_SIMPLE_SumPostDiv_u64_0_0_4v@rel64+4
	s_get_pc_i64 s[68:69]
	s_add_nc_u64 s[68:69], s[68:69], _Z53ncclDevFunc_AllReduce_RING_SIMPLE_MinMax_f8e4m3_0_0_4v@rel64+4
	v_writelane_b32 v58, s2, 4
	v_writelane_b32 v58, s3, 5
	s_get_pc_i64 s[2:3]
	s_add_nc_u64 s[2:3], s[2:3], _Z54ncclDevFunc_AllReduce_RING_SIMPLE_SumPostDiv_u32_0_0_4v@rel64+4
	s_delay_alu instid0(SALU_CYCLE_1) | instskip(SKIP_3) | instid1(SALU_CYCLE_1)
	v_writelane_b32 v58, s2, 6
	v_writelane_b32 v58, s3, 7
	s_get_pc_i64 s[2:3]
	s_add_nc_u64 s[2:3], s[2:3], _Z53ncclDevFunc_AllReduce_RING_SIMPLE_SumPostDiv_u8_0_0_4v@rel64+4
	v_writelane_b32 v58, s2, 8
	v_writelane_b32 v58, s3, 9
	s_get_pc_i64 s[2:3]
	s_add_nc_u64 s[2:3], s[2:3], _Z56ncclDevFunc_AllReduce_RING_SIMPLE_PreMulSum_f8e5m2_0_0_4v@rel64+4
	s_delay_alu instid0(SALU_CYCLE_1) | instskip(SKIP_3) | instid1(SALU_CYCLE_1)
	v_writelane_b32 v58, s2, 10
	v_writelane_b32 v58, s3, 11
	s_get_pc_i64 s[2:3]
	s_add_nc_u64 s[2:3], s[2:3], _Z56ncclDevFunc_AllReduce_RING_SIMPLE_PreMulSum_f8e4m3_0_0_4v@rel64+4
	v_writelane_b32 v58, s2, 12
	v_writelane_b32 v58, s3, 13
	s_get_pc_i64 s[2:3]
	s_add_nc_u64 s[2:3], s[2:3], _Z54ncclDevFunc_AllReduce_RING_SIMPLE_PreMulSum_bf16_0_1_4v@rel64+4
	s_delay_alu instid0(SALU_CYCLE_1) | instskip(SKIP_3) | instid1(SALU_CYCLE_1)
	v_writelane_b32 v58, s2, 14
	v_writelane_b32 v58, s3, 15
	s_get_pc_i64 s[2:3]
	s_add_nc_u64 s[2:3], s[2:3], _Z54ncclDevFunc_AllReduce_RING_SIMPLE_PreMulSum_bf16_0_0_4v@rel64+4
	v_writelane_b32 v58, s2, 16
	v_writelane_b32 v58, s3, 17
	s_get_pc_i64 s[2:3]
	s_add_nc_u64 s[2:3], s[2:3], _Z53ncclDevFunc_AllReduce_RING_SIMPLE_PreMulSum_f64_0_0_4v@rel64+4
	s_delay_alu instid0(SALU_CYCLE_1) | instskip(SKIP_3) | instid1(SALU_CYCLE_1)
	v_writelane_b32 v58, s2, 18
	v_writelane_b32 v58, s3, 19
	s_get_pc_i64 s[2:3]
	s_add_nc_u64 s[2:3], s[2:3], _Z53ncclDevFunc_AllReduce_RING_SIMPLE_PreMulSum_f32_0_0_4v@rel64+4
	v_writelane_b32 v58, s2, 20
	v_writelane_b32 v58, s3, 21
	s_get_pc_i64 s[2:3]
	s_add_nc_u64 s[2:3], s[2:3], _Z53ncclDevFunc_AllReduce_RING_SIMPLE_PreMulSum_f16_0_0_4v@rel64+4
	s_delay_alu instid0(SALU_CYCLE_1) | instskip(SKIP_3) | instid1(SALU_CYCLE_1)
	v_writelane_b32 v58, s2, 22
	v_writelane_b32 v58, s3, 23
	s_get_pc_i64 s[2:3]
	s_add_nc_u64 s[2:3], s[2:3], _Z53ncclDevFunc_AllReduce_RING_SIMPLE_PreMulSum_u64_0_0_4v@rel64+4
	v_writelane_b32 v58, s2, 24
	v_writelane_b32 v58, s3, 25
	s_get_pc_i64 s[2:3]
	s_add_nc_u64 s[2:3], s[2:3], _Z53ncclDevFunc_AllReduce_RING_SIMPLE_PreMulSum_u32_0_0_4v@rel64+4
	s_delay_alu instid0(SALU_CYCLE_1) | instskip(SKIP_3) | instid1(SALU_CYCLE_1)
	v_writelane_b32 v58, s2, 26
	v_writelane_b32 v58, s3, 27
	s_get_pc_i64 s[2:3]
	s_add_nc_u64 s[2:3], s[2:3], _Z51ncclDevFunc_AllReduce_RING_SIMPLE_MinMax_bf16_0_0_4v@rel64+4
	v_writelane_b32 v58, s2, 28
	v_writelane_b32 v58, s3, 29
	s_get_pc_i64 s[2:3]
	s_add_nc_u64 s[2:3], s[2:3], _Z51ncclDevFunc_AllReduce_RING_SIMPLE_MinMax_bf16_0_1_4v@rel64+4
	s_delay_alu instid0(SALU_CYCLE_1)
	v_writelane_b32 v58, s2, 30
	v_writelane_b32 v58, s3, 31
	s_or_saveexec_b32 s105, -1
	scratch_store_b32 off, v58, off         ; 4-byte Folded Spill
	s_wait_xcnt 0x0
	s_mov_b32 exec_lo, s105
	s_get_pc_i64 s[2:3]
	s_add_nc_u64 s[2:3], s[2:3], _Z50ncclDevFunc_AllReduce_RING_SIMPLE_MinMax_f64_0_0_4v@rel64+4
                                        ; implicit-def: $vgpr58 : SGPR spill to VGPR lane
	v_mov_b64_e32 v[42:43], 0
	v_writelane_b32 v58, s2, 0
	s_get_pc_i64 s[102:103]
	s_add_nc_u64 s[102:103], s[102:103], _Z50ncclDevFunc_AllReduce_RING_SIMPLE_MinMax_f16_0_0_4v@rel64+4
	s_get_pc_i64 s[54:55]
	s_add_nc_u64 s[54:55], s[54:55], _Z50ncclDevFunc_AllReduce_RING_SIMPLE_MinMax_u64_0_0_4v@rel64+4
	s_get_pc_i64 s[86:87]
	s_add_nc_u64 s[86:87], s[86:87], _Z51ncclDevFunc_AllReduce_RING_SIMPLE_Prod_f8e5m2_0_0_4v@rel64+4
	s_get_pc_i64 s[96:97]
	s_add_nc_u64 s[96:97], s[96:97], _Z51ncclDevFunc_AllReduce_RING_SIMPLE_Prod_f8e4m3_0_0_4v@rel64+4
	v_writelane_b32 v58, s3, 1
	s_get_pc_i64 s[2:3]
	s_add_nc_u64 s[2:3], s[2:3], _Z50ncclDevFunc_AllReduce_RING_SIMPLE_MinMax_f32_0_0_4v@rel64+4
	s_get_pc_i64 s[80:81]
	s_add_nc_u64 s[80:81], s[80:81], _Z48ncclDevFunc_AllReduce_RING_SIMPLE_Prod_f16_0_0_4v@rel64+4
	s_get_pc_i64 s[82:83]
	s_add_nc_u64 s[82:83], s[82:83], _Z47ncclDevFunc_AllReduce_RING_SIMPLE_Prod_u8_0_0_4v@rel64+4
	s_get_pc_i64 s[70:71]
	s_add_nc_u64 s[70:71], s[70:71], _Z50ncclDevFunc_AllReduce_RING_SIMPLE_Sum_f8e5m2_0_0_4v@rel64+4
	v_writelane_b32 v58, s2, 2
	s_get_pc_i64 s[84:85]
	s_add_nc_u64 s[84:85], s[84:85], _Z50ncclDevFunc_AllReduce_RING_SIMPLE_Sum_f8e4m3_0_0_4v@rel64+4
	s_get_pc_i64 s[98:99]
	s_add_nc_u64 s[98:99], s[98:99], _Z47ncclDevFunc_AllReduce_RING_SIMPLE_Sum_f64_0_0_4v@rel64+4
	v_writelane_b32 v58, s3, 3
	s_get_pc_i64 s[2:3]
	s_add_nc_u64 s[2:3], s[2:3], _Z50ncclDevFunc_AllReduce_RING_SIMPLE_MinMax_u32_0_0_4v@rel64+4
	s_delay_alu instid0(SALU_CYCLE_1) | instskip(SKIP_3) | instid1(SALU_CYCLE_1)
	v_writelane_b32 v58, s2, 4
	v_writelane_b32 v58, s3, 5
	s_get_pc_i64 s[2:3]
	s_add_nc_u64 s[2:3], s[2:3], _Z49ncclDevFunc_AllReduce_RING_SIMPLE_MinMax_u8_0_0_4v@rel64+4
	v_writelane_b32 v58, s2, 6
	v_writelane_b32 v58, s3, 7
	s_get_pc_i64 s[2:3]
	s_add_nc_u64 s[2:3], s[2:3], _Z49ncclDevFunc_AllReduce_RING_SIMPLE_Prod_bf16_0_0_4v@rel64+4
	s_delay_alu instid0(SALU_CYCLE_1) | instskip(SKIP_3) | instid1(SALU_CYCLE_1)
	v_writelane_b32 v58, s2, 8
	v_writelane_b32 v58, s3, 9
	s_get_pc_i64 s[2:3]
	s_add_nc_u64 s[2:3], s[2:3], _Z49ncclDevFunc_AllReduce_RING_SIMPLE_Prod_bf16_0_1_4v@rel64+4
	v_writelane_b32 v58, s2, 10
	v_writelane_b32 v58, s3, 11
	s_get_pc_i64 s[2:3]
	s_add_nc_u64 s[2:3], s[2:3], _Z48ncclDevFunc_AllReduce_RING_SIMPLE_Prod_f64_0_0_4v@rel64+4
	s_delay_alu instid0(SALU_CYCLE_1) | instskip(SKIP_3) | instid1(SALU_CYCLE_1)
	v_writelane_b32 v58, s2, 12
	v_writelane_b32 v58, s3, 13
	s_get_pc_i64 s[2:3]
	s_add_nc_u64 s[2:3], s[2:3], _Z48ncclDevFunc_AllReduce_RING_SIMPLE_Prod_f32_0_0_4v@rel64+4
	v_writelane_b32 v58, s2, 14
	v_writelane_b32 v58, s3, 15
	s_get_pc_i64 s[2:3]
	s_add_nc_u64 s[2:3], s[2:3], _Z48ncclDevFunc_AllReduce_RING_SIMPLE_Prod_u64_0_0_4v@rel64+4
	s_delay_alu instid0(SALU_CYCLE_1) | instskip(SKIP_3) | instid1(SALU_CYCLE_1)
	v_writelane_b32 v58, s2, 16
	v_writelane_b32 v58, s3, 17
	s_get_pc_i64 s[2:3]
	s_add_nc_u64 s[2:3], s[2:3], _Z48ncclDevFunc_AllReduce_RING_SIMPLE_Prod_u32_0_0_4v@rel64+4
	v_writelane_b32 v58, s2, 18
	v_writelane_b32 v58, s3, 19
	s_get_pc_i64 s[2:3]
	s_add_nc_u64 s[2:3], s[2:3], _Z48ncclDevFunc_AllReduce_RING_SIMPLE_Sum_bf16_0_0_4v@rel64+4
	s_delay_alu instid0(SALU_CYCLE_1) | instskip(SKIP_3) | instid1(SALU_CYCLE_1)
	v_writelane_b32 v58, s2, 20
	v_writelane_b32 v58, s3, 21
	s_get_pc_i64 s[2:3]
	s_add_nc_u64 s[2:3], s[2:3], _Z48ncclDevFunc_AllReduce_RING_SIMPLE_Sum_bf16_0_1_4v@rel64+4
	v_writelane_b32 v58, s2, 22
	v_writelane_b32 v58, s3, 23
	s_get_pc_i64 s[2:3]
	s_add_nc_u64 s[2:3], s[2:3], _Z47ncclDevFunc_AllReduce_RING_SIMPLE_Sum_f32_0_0_4v@rel64+4
	s_delay_alu instid0(SALU_CYCLE_1)
	v_writelane_b32 v58, s2, 24
	v_writelane_b32 v58, s3, 25
	s_or_saveexec_b32 s105, -1
	scratch_store_b32 off, v58, off offset:4 ; 4-byte Folded Spill
	s_wait_xcnt 0x0
	s_mov_b32 exec_lo, s105
	s_and_b32 s104, vcc_lo, s0
	s_add_nc_u64 s[50:51], s[36:37], 0x1000
	s_branch .LBB2_90
.LBB2_89:                               ;   in Loop: Header=BB2_90 Depth=1
	s_wait_storecnt_dscnt 0x0
	s_barrier_signal -1
	s_barrier_wait -1
	ds_load_b32 v0, v41 offset:16564
	s_wait_dscnt 0x0
	v_cmp_ne_u32_e64 s0, 0, v0
	s_and_b32 vcc_lo, exec_lo, s0
	s_cbranch_vccnz .LBB2_76
.LBB2_90:                               ; =>This Loop Header: Depth=1
                                        ;     Child Loop BB2_94 Depth 2
                                        ;     Child Loop BB2_585 Depth 2
	;; [unrolled: 1-line block ×3, first 2 shown]
	s_and_saveexec_b32 s0, s33
	s_cbranch_execz .LBB2_100
; %bb.91:                               ;   in Loop: Header=BB2_90 Depth=1
	ds_load_b32 v2, v41 offset:17068
	ds_load_b64 v[4:5], v41 offset:17040
	s_wait_dscnt 0x1
	v_ashrrev_i32_e32 v3, 31, v2
	s_wait_dscnt 0x0
	v_add_nc_u64_e32 v[0:1], 1, v[4:5]
	s_delay_alu instid0(VALU_DEP_2) | instskip(NEXT) | instid1(VALU_DEP_1)
	v_add_nc_u64_e32 v[6:7], v[4:5], v[2:3]
	v_cmp_gt_u64_e32 vcc_lo, v[0:1], v[6:7]
	s_cbranch_vccnz .LBB2_100
; %bb.92:                               ;   in Loop: Header=BB2_90 Depth=1
	ds_load_u8 v6, v41 offset:17064
	s_movk_i32 s1, 0x4f0e
	s_movk_i32 s2, 0x4eda
	s_branch .LBB2_94
.LBB2_93:                               ;   in Loop: Header=BB2_94 Depth=2
	s_wait_dscnt 0x0
	v_ashrrev_i32_e32 v3, 31, v2
	v_add_nc_u64_e32 v[0:1], 1, v[0:1]
	s_add_co_i32 s1, s1, 64
	s_addk_co_i32 s2, 0x80
	s_delay_alu instid0(VALU_DEP_2) | instskip(NEXT) | instid1(VALU_DEP_1)
	v_add_nc_u64_e32 v[8:9], v[4:5], v[2:3]
	v_cmp_le_u64_e32 vcc_lo, v[0:1], v[8:9]
	s_cbranch_vccz .LBB2_100
.LBB2_94:                               ;   Parent Loop BB2_90 Depth=1
                                        ; =>  This Inner Loop Header: Depth=2
	s_wait_dscnt 0x0
	v_and_b32_e32 v3, 0xff, v6
	s_delay_alu instid0(VALU_DEP_1)
	v_cmp_ne_u32_e32 vcc_lo, 0, v3
	s_cbranch_vccz .LBB2_99
; %bb.95:                               ;   in Loop: Header=BB2_94 Depth=2
	v_mov_b32_e32 v3, s2
	ds_load_u8 v3, v3
	s_wait_dscnt 0x0
	v_and_b32_e32 v3, 1, v3
	s_cbranch_execnz .LBB2_97
.LBB2_96:                               ;   in Loop: Header=BB2_94 Depth=2
	v_mov_b32_e32 v3, s1
	ds_load_u16 v3, v3
	s_wait_dscnt 0x0
	v_bfe_u32 v3, v3, 6, 1
.LBB2_97:                               ;   in Loop: Header=BB2_94 Depth=2
	s_delay_alu instid0(VALU_DEP_1)
	v_cmp_eq_u32_e32 vcc_lo, 0, v3
	s_cbranch_vccnz .LBB2_93
; %bb.98:                               ;   in Loop: Header=BB2_94 Depth=2
	s_sendmsg_rtn_b64 s[4:5], sendmsg(MSG_RTN_GET_REALTIME)
	ds_load_u8 v6, v41 offset:17064
	ds_load_b32 v2, v41 offset:16560
	ds_load_b64 v[4:5], v41 offset:16656
	s_wait_dscnt 0x1
	v_dual_ashrrev_i32 v3, 31, v2 :: v_dual_bitop2_b32 v7, 63, v0 bitop3:0x40
	s_delay_alu instid0(VALU_DEP_1) | instskip(SKIP_1) | instid1(VALU_DEP_1)
	v_lshlrev_b64_e32 v[2:3], 10, v[2:3]
	s_wait_dscnt 0x0
	v_add_nc_u64_e32 v[4:5], v[4:5], v[2:3]
	s_wait_kmcnt 0x0
	v_dual_mov_b32 v2, s4 :: v_dual_mov_b32 v3, s5
	s_delay_alu instid0(VALU_DEP_2) | instskip(NEXT) | instid1(VALU_DEP_3)
	v_readfirstlane_b32 s4, v4
	v_readfirstlane_b32 s5, v5
	flat_store_b128 v7, v[0:3], s[4:5] scale_offset
	ds_load_b64 v[4:5], v41 offset:17040
	s_wait_xcnt 0x0
	ds_load_b32 v2, v41 offset:17068
	s_branch .LBB2_93
.LBB2_99:                               ;   in Loop: Header=BB2_94 Depth=2
                                        ; implicit-def: $vgpr3
	s_branch .LBB2_96
.LBB2_100:                              ;   in Loop: Header=BB2_90 Depth=1
	s_or_b32 exec_lo, exec_lo, s0
	ds_load_u16 v0, v41 offset:17066
	s_mov_b32 s0, -1
	s_wait_dscnt 0x0
	v_and_b32_e32 v1, 0xffff, v0
	v_readfirstlane_b32 s100, v0
	s_delay_alu instid0(VALU_DEP_2)
	v_cmp_lt_u32_e32 vcc_lo, 0x58, v1
	s_cbranch_vccz .LBB2_265
; %bb.101:                              ;   in Loop: Header=BB2_90 Depth=1
	s_and_b32 s101, 0xffff, s100
	s_delay_alu instid0(SALU_CYCLE_1)
	s_cmp_gt_u32 s101, 0x85
	s_cbranch_scc0 .LBB2_180
; %bb.102:                              ;   in Loop: Header=BB2_90 Depth=1
	s_cmp_gt_u32 s101, 0x9b
	s_cbranch_scc0 .LBB2_142
; %bb.103:                              ;   in Loop: Header=BB2_90 Depth=1
	;; [unrolled: 3-line block ×6, first 2 shown]
	s_mov_b64 s[4:5], s[48:49]
	v_mov_b32_e32 v31, v40
	s_mov_b64 s[6:7], s[38:39]
	s_mov_b64 s[8:9], s[50:51]
	;; [unrolled: 1-line block ×3, first 2 shown]
	s_or_saveexec_b32 s105, -1
	scratch_load_b32 v58, off, off          ; 4-byte Folded Reload
	s_wait_xcnt 0x0
	s_mov_b32 exec_lo, s105
	s_wait_loadcnt 0x0
	v_readlane_b32 s0, v58, 0
	v_readlane_b32 s1, v58, 1
	s_swap_pc_i64 s[30:31], s[0:1]
	s_mov_b32 s0, 0
.LBB2_108:                              ;   in Loop: Header=BB2_90 Depth=1
	s_delay_alu instid0(SALU_CYCLE_1)
	s_and_not1_b32 vcc_lo, exec_lo, s0
	s_cbranch_vccnz .LBB2_110
; %bb.109:                              ;   in Loop: Header=BB2_90 Depth=1
	s_mov_b64 s[4:5], s[48:49]
	v_mov_b32_e32 v31, v40
	s_mov_b64 s[6:7], s[38:39]
	s_mov_b64 s[8:9], s[50:51]
	;; [unrolled: 1-line block ×3, first 2 shown]
	s_or_saveexec_b32 s105, -1
	scratch_load_b32 v58, off, off          ; 4-byte Folded Reload
	s_wait_xcnt 0x0
	s_mov_b32 exec_lo, s105
	s_wait_loadcnt 0x0
	v_readlane_b32 s0, v58, 2
	v_readlane_b32 s1, v58, 3
	s_swap_pc_i64 s[30:31], s[0:1]
.LBB2_110:                              ;   in Loop: Header=BB2_90 Depth=1
	s_mov_b32 s0, 0
.LBB2_111:                              ;   in Loop: Header=BB2_90 Depth=1
	s_delay_alu instid0(SALU_CYCLE_1)
	s_and_not1_b32 vcc_lo, exec_lo, s0
	s_cbranch_vccnz .LBB2_116
; %bb.112:                              ;   in Loop: Header=BB2_90 Depth=1
	s_cmp_lg_u32 s101, 0xad
	s_mov_b32 s0, -1
	s_cbranch_scc0 .LBB2_114
; %bb.113:                              ;   in Loop: Header=BB2_90 Depth=1
	s_mov_b64 s[4:5], s[48:49]
	v_mov_b32_e32 v31, v40
	s_mov_b64 s[6:7], s[38:39]
	s_mov_b64 s[8:9], s[50:51]
	;; [unrolled: 1-line block ×3, first 2 shown]
	s_or_saveexec_b32 s105, -1
	scratch_load_b32 v58, off, off          ; 4-byte Folded Reload
	s_wait_xcnt 0x0
	s_mov_b32 exec_lo, s105
	s_wait_loadcnt 0x0
	v_readlane_b32 s0, v58, 4
	v_readlane_b32 s1, v58, 5
	s_swap_pc_i64 s[30:31], s[0:1]
	s_mov_b32 s0, 0
.LBB2_114:                              ;   in Loop: Header=BB2_90 Depth=1
	s_delay_alu instid0(SALU_CYCLE_1)
	s_and_not1_b32 vcc_lo, exec_lo, s0
	s_cbranch_vccnz .LBB2_116
; %bb.115:                              ;   in Loop: Header=BB2_90 Depth=1
	s_mov_b64 s[4:5], s[48:49]
	v_mov_b32_e32 v31, v40
	s_mov_b64 s[6:7], s[38:39]
	s_mov_b64 s[8:9], s[50:51]
	;; [unrolled: 1-line block ×3, first 2 shown]
	s_or_saveexec_b32 s105, -1
	scratch_load_b32 v58, off, off          ; 4-byte Folded Reload
	s_wait_xcnt 0x0
	s_mov_b32 exec_lo, s105
	s_wait_loadcnt 0x0
	v_readlane_b32 s0, v58, 6
	v_readlane_b32 s1, v58, 7
	s_swap_pc_i64 s[30:31], s[0:1]
.LBB2_116:                              ;   in Loop: Header=BB2_90 Depth=1
	s_mov_b32 s0, 0
.LBB2_117:                              ;   in Loop: Header=BB2_90 Depth=1
	s_delay_alu instid0(SALU_CYCLE_1)
	s_and_not1_b32 vcc_lo, exec_lo, s0
	s_cbranch_vccnz .LBB2_125
; %bb.118:                              ;   in Loop: Header=BB2_90 Depth=1
	s_cmp_gt_u32 s101, 0xa9
	s_mov_b32 s0, -1
	s_cbranch_scc0 .LBB2_120
; %bb.119:                              ;   in Loop: Header=BB2_90 Depth=1
	s_mov_b64 s[4:5], s[48:49]
	v_mov_b32_e32 v31, v40
	s_mov_b64 s[6:7], s[38:39]
	s_mov_b64 s[8:9], s[50:51]
	;; [unrolled: 1-line block ×3, first 2 shown]
	s_or_saveexec_b32 s105, -1
	scratch_load_b32 v58, off, off          ; 4-byte Folded Reload
	s_wait_xcnt 0x0
	s_mov_b32 exec_lo, s105
	s_wait_loadcnt 0x0
	v_readlane_b32 s0, v58, 8
	v_readlane_b32 s1, v58, 9
	s_swap_pc_i64 s[30:31], s[0:1]
	s_mov_b32 s0, 0
.LBB2_120:                              ;   in Loop: Header=BB2_90 Depth=1
	s_delay_alu instid0(SALU_CYCLE_1)
	s_and_not1_b32 vcc_lo, exec_lo, s0
	s_cbranch_vccnz .LBB2_125
; %bb.121:                              ;   in Loop: Header=BB2_90 Depth=1
	s_cmp_lg_u32 s101, 0xa7
	s_mov_b32 s0, -1
	s_cbranch_scc0 .LBB2_123
; %bb.122:                              ;   in Loop: Header=BB2_90 Depth=1
	s_mov_b64 s[4:5], s[48:49]
	v_mov_b32_e32 v31, v40
	s_mov_b64 s[6:7], s[38:39]
	s_mov_b64 s[8:9], s[50:51]
	;; [unrolled: 1-line block ×3, first 2 shown]
	s_or_saveexec_b32 s105, -1
	scratch_load_b32 v58, off, off          ; 4-byte Folded Reload
	s_wait_xcnt 0x0
	s_mov_b32 exec_lo, s105
	s_wait_loadcnt 0x0
	v_readlane_b32 s0, v58, 10
	v_readlane_b32 s1, v58, 11
	s_swap_pc_i64 s[30:31], s[0:1]
	s_mov_b32 s0, 0
.LBB2_123:                              ;   in Loop: Header=BB2_90 Depth=1
	s_delay_alu instid0(SALU_CYCLE_1)
	s_and_not1_b32 vcc_lo, exec_lo, s0
	s_cbranch_vccnz .LBB2_125
; %bb.124:                              ;   in Loop: Header=BB2_90 Depth=1
	s_mov_b64 s[4:5], s[48:49]
	v_mov_b32_e32 v31, v40
	s_mov_b64 s[6:7], s[38:39]
	s_mov_b64 s[8:9], s[50:51]
	;; [unrolled: 1-line block ×3, first 2 shown]
	s_or_saveexec_b32 s105, -1
	scratch_load_b32 v58, off, off          ; 4-byte Folded Reload
	s_wait_xcnt 0x0
	s_mov_b32 exec_lo, s105
	s_wait_loadcnt 0x0
	v_readlane_b32 s0, v58, 12
	v_readlane_b32 s1, v58, 13
	s_swap_pc_i64 s[30:31], s[0:1]
.LBB2_125:                              ;   in Loop: Header=BB2_90 Depth=1
	s_mov_b32 s0, 0
.LBB2_126:                              ;   in Loop: Header=BB2_90 Depth=1
	s_delay_alu instid0(SALU_CYCLE_1)
	s_and_not1_b32 vcc_lo, exec_lo, s0
	s_cbranch_vccnz .LBB2_141
; %bb.127:                              ;   in Loop: Header=BB2_90 Depth=1
	s_cmp_gt_u32 s101, 0xa0
	s_mov_b32 s0, -1
	s_cbranch_scc0 .LBB2_136
; %bb.128:                              ;   in Loop: Header=BB2_90 Depth=1
	s_cmp_gt_u32 s101, 0xa3
	s_cbranch_scc0 .LBB2_130
; %bb.129:                              ;   in Loop: Header=BB2_90 Depth=1
	s_mov_b64 s[4:5], s[48:49]
	v_mov_b32_e32 v31, v40
	s_mov_b64 s[6:7], s[38:39]
	s_mov_b64 s[8:9], s[50:51]
	;; [unrolled: 1-line block ×3, first 2 shown]
	s_or_saveexec_b32 s105, -1
	scratch_load_b32 v58, off, off          ; 4-byte Folded Reload
	s_wait_xcnt 0x0
	s_mov_b32 exec_lo, s105
	s_wait_loadcnt 0x0
	v_readlane_b32 s0, v58, 14
	v_readlane_b32 s1, v58, 15
	s_swap_pc_i64 s[30:31], s[0:1]
	s_mov_b32 s0, 0
.LBB2_130:                              ;   in Loop: Header=BB2_90 Depth=1
	s_delay_alu instid0(SALU_CYCLE_1)
	s_and_not1_b32 vcc_lo, exec_lo, s0
	s_cbranch_vccnz .LBB2_135
; %bb.131:                              ;   in Loop: Header=BB2_90 Depth=1
	s_cmp_lg_u32 s101, 0xa1
	s_mov_b32 s0, -1
	s_cbranch_scc0 .LBB2_133
; %bb.132:                              ;   in Loop: Header=BB2_90 Depth=1
	s_mov_b64 s[4:5], s[48:49]
	v_mov_b32_e32 v31, v40
	s_mov_b64 s[6:7], s[38:39]
	s_mov_b64 s[8:9], s[50:51]
	;; [unrolled: 1-line block ×3, first 2 shown]
	s_or_saveexec_b32 s105, -1
	scratch_load_b32 v58, off, off          ; 4-byte Folded Reload
	s_wait_xcnt 0x0
	s_mov_b32 exec_lo, s105
	s_wait_loadcnt 0x0
	v_readlane_b32 s0, v58, 16
	v_readlane_b32 s1, v58, 17
	s_swap_pc_i64 s[30:31], s[0:1]
	s_mov_b32 s0, 0
.LBB2_133:                              ;   in Loop: Header=BB2_90 Depth=1
	s_delay_alu instid0(SALU_CYCLE_1)
	s_and_not1_b32 vcc_lo, exec_lo, s0
	s_cbranch_vccnz .LBB2_135
; %bb.134:                              ;   in Loop: Header=BB2_90 Depth=1
	s_mov_b64 s[4:5], s[48:49]
	v_mov_b32_e32 v31, v40
	s_mov_b64 s[6:7], s[38:39]
	s_mov_b64 s[8:9], s[50:51]
	;; [unrolled: 1-line block ×3, first 2 shown]
	s_or_saveexec_b32 s105, -1
	scratch_load_b32 v58, off, off          ; 4-byte Folded Reload
	s_wait_xcnt 0x0
	s_mov_b32 exec_lo, s105
	s_wait_loadcnt 0x0
	v_readlane_b32 s0, v58, 18
	v_readlane_b32 s1, v58, 19
	s_swap_pc_i64 s[30:31], s[0:1]
.LBB2_135:                              ;   in Loop: Header=BB2_90 Depth=1
	s_mov_b32 s0, 0
.LBB2_136:                              ;   in Loop: Header=BB2_90 Depth=1
	s_delay_alu instid0(SALU_CYCLE_1)
	s_and_not1_b32 vcc_lo, exec_lo, s0
	s_cbranch_vccnz .LBB2_141
; %bb.137:                              ;   in Loop: Header=BB2_90 Depth=1
	s_cmp_gt_u32 s101, 0x9d
	s_mov_b32 s0, -1
	s_cbranch_scc0 .LBB2_139
; %bb.138:                              ;   in Loop: Header=BB2_90 Depth=1
	s_mov_b64 s[4:5], s[48:49]
	v_mov_b32_e32 v31, v40
	s_mov_b64 s[6:7], s[38:39]
	s_mov_b64 s[8:9], s[50:51]
	;; [unrolled: 1-line block ×3, first 2 shown]
	s_or_saveexec_b32 s105, -1
	scratch_load_b32 v58, off, off          ; 4-byte Folded Reload
	s_wait_xcnt 0x0
	s_mov_b32 exec_lo, s105
	s_wait_loadcnt 0x0
	v_readlane_b32 s0, v58, 20
	v_readlane_b32 s1, v58, 21
	s_swap_pc_i64 s[30:31], s[0:1]
	s_mov_b32 s0, 0
.LBB2_139:                              ;   in Loop: Header=BB2_90 Depth=1
	s_delay_alu instid0(SALU_CYCLE_1)
	s_and_not1_b32 vcc_lo, exec_lo, s0
	s_cbranch_vccnz .LBB2_141
; %bb.140:                              ;   in Loop: Header=BB2_90 Depth=1
	s_mov_b64 s[4:5], s[48:49]
	v_mov_b32_e32 v31, v40
	s_mov_b64 s[6:7], s[38:39]
	s_mov_b64 s[8:9], s[50:51]
	;; [unrolled: 1-line block ×3, first 2 shown]
	s_or_saveexec_b32 s105, -1
	scratch_load_b32 v58, off, off          ; 4-byte Folded Reload
	s_wait_xcnt 0x0
	s_mov_b32 exec_lo, s105
	s_wait_loadcnt 0x0
	v_readlane_b32 s0, v58, 22
	v_readlane_b32 s1, v58, 23
	s_swap_pc_i64 s[30:31], s[0:1]
.LBB2_141:                              ;   in Loop: Header=BB2_90 Depth=1
	s_mov_b32 s0, 0
.LBB2_142:                              ;   in Loop: Header=BB2_90 Depth=1
	s_delay_alu instid0(SALU_CYCLE_1)
	s_and_not1_b32 vcc_lo, exec_lo, s0
	s_cbranch_vccnz .LBB2_179
; %bb.143:                              ;   in Loop: Header=BB2_90 Depth=1
	s_cmp_gt_u32 s101, 0x90
	s_mov_b32 s0, -1
	s_cbranch_scc0 .LBB2_160
; %bb.144:                              ;   in Loop: Header=BB2_90 Depth=1
	s_cmp_gt_u32 s101, 0x95
	s_cbranch_scc0 .LBB2_154
; %bb.145:                              ;   in Loop: Header=BB2_90 Depth=1
	s_cmp_gt_u32 s101, 0x98
	s_cbranch_scc0 .LBB2_151
; %bb.146:                              ;   in Loop: Header=BB2_90 Depth=1
	s_cmp_lg_u32 s101, 0x99
	s_cbranch_scc0 .LBB2_148
; %bb.147:                              ;   in Loop: Header=BB2_90 Depth=1
	s_mov_b64 s[4:5], s[48:49]
	v_mov_b32_e32 v31, v40
	s_mov_b64 s[6:7], s[38:39]
	s_mov_b64 s[8:9], s[50:51]
	;; [unrolled: 1-line block ×3, first 2 shown]
	s_or_saveexec_b32 s105, -1
	scratch_load_b32 v58, off, off          ; 4-byte Folded Reload
	s_wait_xcnt 0x0
	s_mov_b32 exec_lo, s105
	s_wait_loadcnt 0x0
	v_readlane_b32 s0, v58, 24
	v_readlane_b32 s1, v58, 25
	s_swap_pc_i64 s[30:31], s[0:1]
	s_mov_b32 s0, 0
.LBB2_148:                              ;   in Loop: Header=BB2_90 Depth=1
	s_delay_alu instid0(SALU_CYCLE_1)
	s_and_not1_b32 vcc_lo, exec_lo, s0
	s_cbranch_vccnz .LBB2_150
; %bb.149:                              ;   in Loop: Header=BB2_90 Depth=1
	s_mov_b64 s[4:5], s[48:49]
	v_mov_b32_e32 v31, v40
	s_mov_b64 s[6:7], s[38:39]
	s_mov_b64 s[8:9], s[50:51]
	;; [unrolled: 1-line block ×3, first 2 shown]
	s_or_saveexec_b32 s105, -1
	scratch_load_b32 v58, off, off          ; 4-byte Folded Reload
	s_wait_xcnt 0x0
	s_mov_b32 exec_lo, s105
	s_wait_loadcnt 0x0
	v_readlane_b32 s0, v58, 26
	v_readlane_b32 s1, v58, 27
	s_swap_pc_i64 s[30:31], s[0:1]
.LBB2_150:                              ;   in Loop: Header=BB2_90 Depth=1
	s_mov_b32 s0, 0
.LBB2_151:                              ;   in Loop: Header=BB2_90 Depth=1
	s_delay_alu instid0(SALU_CYCLE_1)
	s_and_not1_b32 vcc_lo, exec_lo, s0
	s_cbranch_vccnz .LBB2_153
; %bb.152:                              ;   in Loop: Header=BB2_90 Depth=1
	v_mov_b32_e32 v31, v40
	s_mov_b64 s[4:5], s[48:49]
	s_mov_b64 s[6:7], s[38:39]
	;; [unrolled: 1-line block ×4, first 2 shown]
	s_swap_pc_i64 s[30:31], s[64:65]
.LBB2_153:                              ;   in Loop: Header=BB2_90 Depth=1
	s_mov_b32 s0, 0
.LBB2_154:                              ;   in Loop: Header=BB2_90 Depth=1
	s_delay_alu instid0(SALU_CYCLE_1)
	s_and_not1_b32 vcc_lo, exec_lo, s0
	s_cbranch_vccnz .LBB2_159
; %bb.155:                              ;   in Loop: Header=BB2_90 Depth=1
	s_cmp_gt_u32 s101, 0x93
	s_mov_b32 s0, -1
	s_cbranch_scc0 .LBB2_157
; %bb.156:                              ;   in Loop: Header=BB2_90 Depth=1
	v_mov_b32_e32 v31, v40
	s_mov_b64 s[4:5], s[48:49]
	s_mov_b64 s[6:7], s[38:39]
	;; [unrolled: 1-line block ×4, first 2 shown]
	s_swap_pc_i64 s[30:31], s[66:67]
	s_mov_b32 s0, 0
.LBB2_157:                              ;   in Loop: Header=BB2_90 Depth=1
	s_delay_alu instid0(SALU_CYCLE_1)
	s_and_not1_b32 vcc_lo, exec_lo, s0
	s_cbranch_vccnz .LBB2_159
; %bb.158:                              ;   in Loop: Header=BB2_90 Depth=1
	v_mov_b32_e32 v31, v40
	s_mov_b64 s[4:5], s[48:49]
	s_mov_b64 s[6:7], s[38:39]
	;; [unrolled: 1-line block ×4, first 2 shown]
	s_swap_pc_i64 s[30:31], s[68:69]
.LBB2_159:                              ;   in Loop: Header=BB2_90 Depth=1
	s_mov_b32 s0, 0
.LBB2_160:                              ;   in Loop: Header=BB2_90 Depth=1
	s_delay_alu instid0(SALU_CYCLE_1)
	s_and_not1_b32 vcc_lo, exec_lo, s0
	s_cbranch_vccnz .LBB2_179
; %bb.161:                              ;   in Loop: Header=BB2_90 Depth=1
	s_cmp_gt_u32 s101, 0x8a
	s_mov_b32 s0, -1
	s_cbranch_scc0 .LBB2_174
; %bb.162:                              ;   in Loop: Header=BB2_90 Depth=1
	s_cmp_gt_u32 s101, 0x8d
	s_cbranch_scc0 .LBB2_168
; %bb.163:                              ;   in Loop: Header=BB2_90 Depth=1
	s_cmp_eq_u32 s101, 0x90
	s_cbranch_scc1 .LBB2_165
; %bb.164:                              ;   in Loop: Header=BB2_90 Depth=1
	s_mov_b64 s[4:5], s[48:49]
	v_mov_b32_e32 v31, v40
	s_mov_b64 s[6:7], s[38:39]
	s_mov_b64 s[8:9], s[50:51]
	;; [unrolled: 1-line block ×3, first 2 shown]
	s_or_saveexec_b32 s105, -1
	scratch_load_b32 v58, off, off          ; 4-byte Folded Reload
	s_wait_xcnt 0x0
	s_mov_b32 exec_lo, s105
	s_wait_loadcnt 0x0
	v_readlane_b32 s0, v58, 28
	v_readlane_b32 s1, v58, 29
	s_swap_pc_i64 s[30:31], s[0:1]
	s_mov_b32 s0, 0
.LBB2_165:                              ;   in Loop: Header=BB2_90 Depth=1
	s_delay_alu instid0(SALU_CYCLE_1)
	s_and_not1_b32 vcc_lo, exec_lo, s0
	s_cbranch_vccnz .LBB2_167
; %bb.166:                              ;   in Loop: Header=BB2_90 Depth=1
	s_mov_b64 s[4:5], s[48:49]
	v_mov_b32_e32 v31, v40
	s_mov_b64 s[6:7], s[38:39]
	s_mov_b64 s[8:9], s[50:51]
	;; [unrolled: 1-line block ×3, first 2 shown]
	s_or_saveexec_b32 s105, -1
	scratch_load_b32 v58, off, off          ; 4-byte Folded Reload
	s_wait_xcnt 0x0
	s_mov_b32 exec_lo, s105
	s_wait_loadcnt 0x0
	v_readlane_b32 s0, v58, 30
	v_readlane_b32 s1, v58, 31
	s_swap_pc_i64 s[30:31], s[0:1]
.LBB2_167:                              ;   in Loop: Header=BB2_90 Depth=1
	s_mov_b32 s0, 0
.LBB2_168:                              ;   in Loop: Header=BB2_90 Depth=1
	s_delay_alu instid0(SALU_CYCLE_1)
	s_and_not1_b32 vcc_lo, exec_lo, s0
	s_cbranch_vccnz .LBB2_173
; %bb.169:                              ;   in Loop: Header=BB2_90 Depth=1
	s_cmp_lg_u32 s101, 0x8b
	s_mov_b32 s0, -1
	s_cbranch_scc0 .LBB2_171
; %bb.170:                              ;   in Loop: Header=BB2_90 Depth=1
	s_mov_b64 s[4:5], s[48:49]
	v_mov_b32_e32 v31, v40
	s_mov_b64 s[6:7], s[38:39]
	s_mov_b64 s[8:9], s[50:51]
	;; [unrolled: 1-line block ×3, first 2 shown]
	s_or_saveexec_b32 s105, -1
	scratch_load_b32 v58, off, off offset:4 ; 4-byte Folded Reload
	s_wait_xcnt 0x0
	s_mov_b32 exec_lo, s105
	s_wait_loadcnt 0x0
	v_readlane_b32 s0, v58, 0
	v_readlane_b32 s1, v58, 1
	s_swap_pc_i64 s[30:31], s[0:1]
	s_mov_b32 s0, 0
.LBB2_171:                              ;   in Loop: Header=BB2_90 Depth=1
	s_delay_alu instid0(SALU_CYCLE_1)
	s_and_not1_b32 vcc_lo, exec_lo, s0
	s_cbranch_vccnz .LBB2_173
; %bb.172:                              ;   in Loop: Header=BB2_90 Depth=1
	s_mov_b64 s[4:5], s[48:49]
	v_mov_b32_e32 v31, v40
	s_mov_b64 s[6:7], s[38:39]
	s_mov_b64 s[8:9], s[50:51]
	s_mov_b64 s[10:11], s[34:35]
	s_or_saveexec_b32 s105, -1
	scratch_load_b32 v58, off, off offset:4 ; 4-byte Folded Reload
	s_wait_xcnt 0x0
	s_mov_b32 exec_lo, s105
	s_wait_loadcnt 0x0
	v_readlane_b32 s0, v58, 2
	v_readlane_b32 s1, v58, 3
	s_swap_pc_i64 s[30:31], s[0:1]
.LBB2_173:                              ;   in Loop: Header=BB2_90 Depth=1
	s_mov_b32 s0, 0
.LBB2_174:                              ;   in Loop: Header=BB2_90 Depth=1
	s_delay_alu instid0(SALU_CYCLE_1)
	s_and_not1_b32 vcc_lo, exec_lo, s0
	s_cbranch_vccnz .LBB2_179
; %bb.175:                              ;   in Loop: Header=BB2_90 Depth=1
	s_cmp_gt_u32 s101, 0x87
	s_mov_b32 s0, -1
	s_cbranch_scc0 .LBB2_177
; %bb.176:                              ;   in Loop: Header=BB2_90 Depth=1
	v_mov_b32_e32 v31, v40
	s_mov_b64 s[4:5], s[48:49]
	s_mov_b64 s[6:7], s[38:39]
	;; [unrolled: 1-line block ×4, first 2 shown]
	s_swap_pc_i64 s[30:31], s[102:103]
	s_mov_b32 s0, 0
.LBB2_177:                              ;   in Loop: Header=BB2_90 Depth=1
	s_delay_alu instid0(SALU_CYCLE_1)
	s_and_not1_b32 vcc_lo, exec_lo, s0
	s_cbranch_vccnz .LBB2_179
; %bb.178:                              ;   in Loop: Header=BB2_90 Depth=1
	v_mov_b32_e32 v31, v40
	s_mov_b64 s[4:5], s[48:49]
	s_mov_b64 s[6:7], s[38:39]
	;; [unrolled: 1-line block ×4, first 2 shown]
	s_swap_pc_i64 s[30:31], s[54:55]
.LBB2_179:                              ;   in Loop: Header=BB2_90 Depth=1
	s_mov_b32 s0, 0
.LBB2_180:                              ;   in Loop: Header=BB2_90 Depth=1
	s_delay_alu instid0(SALU_CYCLE_1)
	s_and_not1_b32 vcc_lo, exec_lo, s0
	s_cbranch_vccnz .LBB2_264
; %bb.181:                              ;   in Loop: Header=BB2_90 Depth=1
	s_cmp_gt_u32 s101, 0x6e
	s_mov_b32 s0, -1
	s_cbranch_scc0 .LBB2_223
; %bb.182:                              ;   in Loop: Header=BB2_90 Depth=1
	s_cmp_gt_u32 s101, 0x79
	s_cbranch_scc0 .LBB2_202
; %bb.183:                              ;   in Loop: Header=BB2_90 Depth=1
	s_cmp_gt_u32 s101, 0x7f
	;; [unrolled: 3-line block ×3, first 2 shown]
	s_cbranch_scc0 .LBB2_190
; %bb.185:                              ;   in Loop: Header=BB2_90 Depth=1
	s_cmp_lg_u32 s101, 0x83
	s_cbranch_scc0 .LBB2_187
; %bb.186:                              ;   in Loop: Header=BB2_90 Depth=1
	s_mov_b64 s[4:5], s[48:49]
	v_mov_b32_e32 v31, v40
	s_mov_b64 s[6:7], s[38:39]
	s_mov_b64 s[8:9], s[50:51]
	;; [unrolled: 1-line block ×3, first 2 shown]
	s_or_saveexec_b32 s105, -1
	scratch_load_b32 v58, off, off offset:4 ; 4-byte Folded Reload
	s_wait_xcnt 0x0
	s_mov_b32 exec_lo, s105
	s_wait_loadcnt 0x0
	v_readlane_b32 s0, v58, 4
	v_readlane_b32 s1, v58, 5
	s_swap_pc_i64 s[30:31], s[0:1]
	s_mov_b32 s0, 0
.LBB2_187:                              ;   in Loop: Header=BB2_90 Depth=1
	s_delay_alu instid0(SALU_CYCLE_1)
	s_and_not1_b32 vcc_lo, exec_lo, s0
	s_cbranch_vccnz .LBB2_189
; %bb.188:                              ;   in Loop: Header=BB2_90 Depth=1
	s_mov_b64 s[4:5], s[48:49]
	v_mov_b32_e32 v31, v40
	s_mov_b64 s[6:7], s[38:39]
	s_mov_b64 s[8:9], s[50:51]
	;; [unrolled: 1-line block ×3, first 2 shown]
	s_or_saveexec_b32 s105, -1
	scratch_load_b32 v58, off, off offset:4 ; 4-byte Folded Reload
	s_wait_xcnt 0x0
	s_mov_b32 exec_lo, s105
	s_wait_loadcnt 0x0
	v_readlane_b32 s0, v58, 6
	v_readlane_b32 s1, v58, 7
	s_swap_pc_i64 s[30:31], s[0:1]
.LBB2_189:                              ;   in Loop: Header=BB2_90 Depth=1
	s_mov_b32 s0, 0
.LBB2_190:                              ;   in Loop: Header=BB2_90 Depth=1
	s_delay_alu instid0(SALU_CYCLE_1)
	s_and_not1_b32 vcc_lo, exec_lo, s0
	s_cbranch_vccnz .LBB2_192
; %bb.191:                              ;   in Loop: Header=BB2_90 Depth=1
	v_mov_b32_e32 v31, v40
	s_mov_b64 s[4:5], s[48:49]
	s_mov_b64 s[6:7], s[38:39]
	;; [unrolled: 1-line block ×4, first 2 shown]
	s_swap_pc_i64 s[30:31], s[86:87]
.LBB2_192:                              ;   in Loop: Header=BB2_90 Depth=1
	s_mov_b32 s0, 0
.LBB2_193:                              ;   in Loop: Header=BB2_90 Depth=1
	s_delay_alu instid0(SALU_CYCLE_1)
	s_and_not1_b32 vcc_lo, exec_lo, s0
	s_cbranch_vccnz .LBB2_201
; %bb.194:                              ;   in Loop: Header=BB2_90 Depth=1
	s_cmp_gt_u32 s101, 0x7c
	s_mov_b32 s0, -1
	s_cbranch_scc0 .LBB2_196
; %bb.195:                              ;   in Loop: Header=BB2_90 Depth=1
	v_mov_b32_e32 v31, v40
	s_mov_b64 s[4:5], s[48:49]
	s_mov_b64 s[6:7], s[38:39]
	;; [unrolled: 1-line block ×4, first 2 shown]
	s_swap_pc_i64 s[30:31], s[96:97]
	s_mov_b32 s0, 0
.LBB2_196:                              ;   in Loop: Header=BB2_90 Depth=1
	s_delay_alu instid0(SALU_CYCLE_1)
	s_and_not1_b32 vcc_lo, exec_lo, s0
	s_cbranch_vccnz .LBB2_201
; %bb.197:                              ;   in Loop: Header=BB2_90 Depth=1
	s_cmp_eq_u32 s101, 0x7c
	s_mov_b32 s0, -1
	s_cbranch_scc1 .LBB2_199
; %bb.198:                              ;   in Loop: Header=BB2_90 Depth=1
	s_mov_b64 s[4:5], s[48:49]
	v_mov_b32_e32 v31, v40
	s_mov_b64 s[6:7], s[38:39]
	s_mov_b64 s[8:9], s[50:51]
	;; [unrolled: 1-line block ×3, first 2 shown]
	s_or_saveexec_b32 s105, -1
	scratch_load_b32 v58, off, off offset:4 ; 4-byte Folded Reload
	s_wait_xcnt 0x0
	s_mov_b32 exec_lo, s105
	s_wait_loadcnt 0x0
	v_readlane_b32 s0, v58, 8
	v_readlane_b32 s1, v58, 9
	s_swap_pc_i64 s[30:31], s[0:1]
	s_mov_b32 s0, 0
.LBB2_199:                              ;   in Loop: Header=BB2_90 Depth=1
	s_delay_alu instid0(SALU_CYCLE_1)
	s_and_not1_b32 vcc_lo, exec_lo, s0
	s_cbranch_vccnz .LBB2_201
; %bb.200:                              ;   in Loop: Header=BB2_90 Depth=1
	s_mov_b64 s[4:5], s[48:49]
	v_mov_b32_e32 v31, v40
	s_mov_b64 s[6:7], s[38:39]
	s_mov_b64 s[8:9], s[50:51]
	;; [unrolled: 1-line block ×3, first 2 shown]
	s_or_saveexec_b32 s105, -1
	scratch_load_b32 v58, off, off offset:4 ; 4-byte Folded Reload
	s_wait_xcnt 0x0
	s_mov_b32 exec_lo, s105
	s_wait_loadcnt 0x0
	v_readlane_b32 s0, v58, 10
	v_readlane_b32 s1, v58, 11
	s_swap_pc_i64 s[30:31], s[0:1]
.LBB2_201:                              ;   in Loop: Header=BB2_90 Depth=1
	s_mov_b32 s0, 0
.LBB2_202:                              ;   in Loop: Header=BB2_90 Depth=1
	s_delay_alu instid0(SALU_CYCLE_1)
	s_and_not1_b32 vcc_lo, exec_lo, s0
	s_cbranch_vccnz .LBB2_222
; %bb.203:                              ;   in Loop: Header=BB2_90 Depth=1
	s_cmp_gt_u32 s101, 0x73
	s_mov_b32 s0, -1
	s_cbranch_scc0 .LBB2_213
; %bb.204:                              ;   in Loop: Header=BB2_90 Depth=1
	s_cmp_gt_u32 s101, 0x76
	s_cbranch_scc0 .LBB2_210
; %bb.205:                              ;   in Loop: Header=BB2_90 Depth=1
	s_cmp_lg_u32 s101, 0x77
	s_cbranch_scc0 .LBB2_207
; %bb.206:                              ;   in Loop: Header=BB2_90 Depth=1
	s_mov_b64 s[4:5], s[48:49]
	v_mov_b32_e32 v31, v40
	s_mov_b64 s[6:7], s[38:39]
	s_mov_b64 s[8:9], s[50:51]
	;; [unrolled: 1-line block ×3, first 2 shown]
	s_or_saveexec_b32 s105, -1
	scratch_load_b32 v58, off, off offset:4 ; 4-byte Folded Reload
	s_wait_xcnt 0x0
	s_mov_b32 exec_lo, s105
	s_wait_loadcnt 0x0
	v_readlane_b32 s0, v58, 12
	v_readlane_b32 s1, v58, 13
	s_swap_pc_i64 s[30:31], s[0:1]
	s_mov_b32 s0, 0
.LBB2_207:                              ;   in Loop: Header=BB2_90 Depth=1
	s_delay_alu instid0(SALU_CYCLE_1)
	s_and_not1_b32 vcc_lo, exec_lo, s0
	s_cbranch_vccnz .LBB2_209
; %bb.208:                              ;   in Loop: Header=BB2_90 Depth=1
	s_mov_b64 s[4:5], s[48:49]
	v_mov_b32_e32 v31, v40
	s_mov_b64 s[6:7], s[38:39]
	s_mov_b64 s[8:9], s[50:51]
	;; [unrolled: 1-line block ×3, first 2 shown]
	s_or_saveexec_b32 s105, -1
	scratch_load_b32 v58, off, off offset:4 ; 4-byte Folded Reload
	s_wait_xcnt 0x0
	s_mov_b32 exec_lo, s105
	s_wait_loadcnt 0x0
	v_readlane_b32 s0, v58, 14
	v_readlane_b32 s1, v58, 15
	s_swap_pc_i64 s[30:31], s[0:1]
.LBB2_209:                              ;   in Loop: Header=BB2_90 Depth=1
	s_mov_b32 s0, 0
.LBB2_210:                              ;   in Loop: Header=BB2_90 Depth=1
	s_delay_alu instid0(SALU_CYCLE_1)
	s_and_not1_b32 vcc_lo, exec_lo, s0
	s_cbranch_vccnz .LBB2_212
; %bb.211:                              ;   in Loop: Header=BB2_90 Depth=1
	v_mov_b32_e32 v31, v40
	s_mov_b64 s[4:5], s[48:49]
	s_mov_b64 s[6:7], s[38:39]
	;; [unrolled: 1-line block ×4, first 2 shown]
	s_swap_pc_i64 s[30:31], s[80:81]
.LBB2_212:                              ;   in Loop: Header=BB2_90 Depth=1
	s_mov_b32 s0, 0
.LBB2_213:                              ;   in Loop: Header=BB2_90 Depth=1
	s_delay_alu instid0(SALU_CYCLE_1)
	s_and_not1_b32 vcc_lo, exec_lo, s0
	s_cbranch_vccnz .LBB2_222
; %bb.214:                              ;   in Loop: Header=BB2_90 Depth=1
	s_cmp_gt_u32 s101, 0x70
	s_mov_b32 s0, -1
	s_cbranch_scc0 .LBB2_220
; %bb.215:                              ;   in Loop: Header=BB2_90 Depth=1
	s_cmp_lg_u32 s101, 0x71
	s_cbranch_scc0 .LBB2_217
; %bb.216:                              ;   in Loop: Header=BB2_90 Depth=1
	s_mov_b64 s[4:5], s[48:49]
	v_mov_b32_e32 v31, v40
	s_mov_b64 s[6:7], s[38:39]
	s_mov_b64 s[8:9], s[50:51]
	;; [unrolled: 1-line block ×3, first 2 shown]
	s_or_saveexec_b32 s105, -1
	scratch_load_b32 v58, off, off offset:4 ; 4-byte Folded Reload
	s_wait_xcnt 0x0
	s_mov_b32 exec_lo, s105
	s_wait_loadcnt 0x0
	v_readlane_b32 s0, v58, 16
	v_readlane_b32 s1, v58, 17
	s_swap_pc_i64 s[30:31], s[0:1]
	s_mov_b32 s0, 0
.LBB2_217:                              ;   in Loop: Header=BB2_90 Depth=1
	s_delay_alu instid0(SALU_CYCLE_1)
	s_and_not1_b32 vcc_lo, exec_lo, s0
	s_cbranch_vccnz .LBB2_219
; %bb.218:                              ;   in Loop: Header=BB2_90 Depth=1
	s_mov_b64 s[4:5], s[48:49]
	v_mov_b32_e32 v31, v40
	s_mov_b64 s[6:7], s[38:39]
	s_mov_b64 s[8:9], s[50:51]
	;; [unrolled: 1-line block ×3, first 2 shown]
	s_or_saveexec_b32 s105, -1
	scratch_load_b32 v58, off, off offset:4 ; 4-byte Folded Reload
	s_wait_xcnt 0x0
	s_mov_b32 exec_lo, s105
	s_wait_loadcnt 0x0
	v_readlane_b32 s0, v58, 18
	v_readlane_b32 s1, v58, 19
	s_swap_pc_i64 s[30:31], s[0:1]
.LBB2_219:                              ;   in Loop: Header=BB2_90 Depth=1
	s_mov_b32 s0, 0
.LBB2_220:                              ;   in Loop: Header=BB2_90 Depth=1
	s_delay_alu instid0(SALU_CYCLE_1)
	s_and_not1_b32 vcc_lo, exec_lo, s0
	s_cbranch_vccnz .LBB2_222
; %bb.221:                              ;   in Loop: Header=BB2_90 Depth=1
	v_mov_b32_e32 v31, v40
	s_mov_b64 s[4:5], s[48:49]
	s_mov_b64 s[6:7], s[38:39]
	;; [unrolled: 1-line block ×4, first 2 shown]
	s_swap_pc_i64 s[30:31], s[82:83]
.LBB2_222:                              ;   in Loop: Header=BB2_90 Depth=1
	s_mov_b32 s0, 0
.LBB2_223:                              ;   in Loop: Header=BB2_90 Depth=1
	s_delay_alu instid0(SALU_CYCLE_1)
	s_and_not1_b32 vcc_lo, exec_lo, s0
	s_cbranch_vccnz .LBB2_264
; %bb.224:                              ;   in Loop: Header=BB2_90 Depth=1
	s_cmp_gt_u32 s101, 0x63
	s_mov_b32 s0, -1
	s_cbranch_scc0 .LBB2_241
; %bb.225:                              ;   in Loop: Header=BB2_90 Depth=1
	s_cmp_gt_u32 s101, 0x68
	s_cbranch_scc0 .LBB2_231
; %bb.226:                              ;   in Loop: Header=BB2_90 Depth=1
	s_cmp_gt_u32 s101, 0x6b
	s_cbranch_scc0 .LBB2_228
; %bb.227:                              ;   in Loop: Header=BB2_90 Depth=1
	v_mov_b32_e32 v31, v40
	s_mov_b64 s[4:5], s[48:49]
	s_mov_b64 s[6:7], s[38:39]
	;; [unrolled: 1-line block ×4, first 2 shown]
	s_swap_pc_i64 s[30:31], s[70:71]
	s_mov_b32 s0, 0
.LBB2_228:                              ;   in Loop: Header=BB2_90 Depth=1
	s_delay_alu instid0(SALU_CYCLE_1)
	s_and_not1_b32 vcc_lo, exec_lo, s0
	s_cbranch_vccnz .LBB2_230
; %bb.229:                              ;   in Loop: Header=BB2_90 Depth=1
	v_mov_b32_e32 v31, v40
	s_mov_b64 s[4:5], s[48:49]
	s_mov_b64 s[6:7], s[38:39]
	;; [unrolled: 1-line block ×4, first 2 shown]
	s_swap_pc_i64 s[30:31], s[84:85]
.LBB2_230:                              ;   in Loop: Header=BB2_90 Depth=1
	s_mov_b32 s0, 0
.LBB2_231:                              ;   in Loop: Header=BB2_90 Depth=1
	s_delay_alu instid0(SALU_CYCLE_1)
	s_and_not1_b32 vcc_lo, exec_lo, s0
	s_cbranch_vccnz .LBB2_240
; %bb.232:                              ;   in Loop: Header=BB2_90 Depth=1
	s_cmp_gt_u32 s101, 0x65
	s_mov_b32 s0, -1
	s_cbranch_scc0 .LBB2_238
; %bb.233:                              ;   in Loop: Header=BB2_90 Depth=1
	s_cmp_eq_u32 s101, 0x68
	s_cbranch_scc1 .LBB2_235
; %bb.234:                              ;   in Loop: Header=BB2_90 Depth=1
	s_mov_b64 s[4:5], s[48:49]
	v_mov_b32_e32 v31, v40
	s_mov_b64 s[6:7], s[38:39]
	s_mov_b64 s[8:9], s[50:51]
	;; [unrolled: 1-line block ×3, first 2 shown]
	s_or_saveexec_b32 s105, -1
	scratch_load_b32 v58, off, off offset:4 ; 4-byte Folded Reload
	s_wait_xcnt 0x0
	s_mov_b32 exec_lo, s105
	s_wait_loadcnt 0x0
	v_readlane_b32 s0, v58, 20
	v_readlane_b32 s1, v58, 21
	s_swap_pc_i64 s[30:31], s[0:1]
	s_mov_b32 s0, 0
.LBB2_235:                              ;   in Loop: Header=BB2_90 Depth=1
	s_delay_alu instid0(SALU_CYCLE_1)
	s_and_not1_b32 vcc_lo, exec_lo, s0
	s_cbranch_vccnz .LBB2_237
; %bb.236:                              ;   in Loop: Header=BB2_90 Depth=1
	s_mov_b64 s[4:5], s[48:49]
	v_mov_b32_e32 v31, v40
	s_mov_b64 s[6:7], s[38:39]
	s_mov_b64 s[8:9], s[50:51]
	s_mov_b64 s[10:11], s[34:35]
	s_or_saveexec_b32 s105, -1
	scratch_load_b32 v58, off, off offset:4 ; 4-byte Folded Reload
	s_wait_xcnt 0x0
	s_mov_b32 exec_lo, s105
	s_wait_loadcnt 0x0
	v_readlane_b32 s0, v58, 22
	v_readlane_b32 s1, v58, 23
	s_swap_pc_i64 s[30:31], s[0:1]
.LBB2_237:                              ;   in Loop: Header=BB2_90 Depth=1
	s_mov_b32 s0, 0
.LBB2_238:                              ;   in Loop: Header=BB2_90 Depth=1
	s_delay_alu instid0(SALU_CYCLE_1)
	s_and_not1_b32 vcc_lo, exec_lo, s0
	s_cbranch_vccnz .LBB2_240
; %bb.239:                              ;   in Loop: Header=BB2_90 Depth=1
	v_mov_b32_e32 v31, v40
	s_mov_b64 s[4:5], s[48:49]
	s_mov_b64 s[6:7], s[38:39]
	;; [unrolled: 1-line block ×4, first 2 shown]
	s_swap_pc_i64 s[30:31], s[98:99]
.LBB2_240:                              ;   in Loop: Header=BB2_90 Depth=1
	s_mov_b32 s0, 0
.LBB2_241:                              ;   in Loop: Header=BB2_90 Depth=1
	s_delay_alu instid0(SALU_CYCLE_1)
	s_and_not1_b32 vcc_lo, exec_lo, s0
	s_cbranch_vccnz .LBB2_264
; %bb.242:                              ;   in Loop: Header=BB2_90 Depth=1
	s_cmp_gt_u32 s101, 0x5d
	s_mov_b32 s0, -1
	s_cbranch_scc0 .LBB2_252
; %bb.243:                              ;   in Loop: Header=BB2_90 Depth=1
	s_cmp_gt_u32 s101, 0x60
	s_cbranch_scc0 .LBB2_249
; %bb.244:                              ;   in Loop: Header=BB2_90 Depth=1
	s_cmp_lg_u32 s101, 0x61
	s_cbranch_scc0 .LBB2_246
; %bb.245:                              ;   in Loop: Header=BB2_90 Depth=1
	s_mov_b64 s[4:5], s[48:49]
	v_mov_b32_e32 v31, v40
	s_mov_b64 s[6:7], s[38:39]
	s_mov_b64 s[8:9], s[50:51]
	;; [unrolled: 1-line block ×3, first 2 shown]
	s_or_saveexec_b32 s105, -1
	scratch_load_b32 v58, off, off offset:4 ; 4-byte Folded Reload
	s_wait_xcnt 0x0
	s_mov_b32 exec_lo, s105
	s_wait_loadcnt 0x0
	v_readlane_b32 s0, v58, 24
	v_readlane_b32 s1, v58, 25
	s_swap_pc_i64 s[30:31], s[0:1]
	s_mov_b32 s0, 0
.LBB2_246:                              ;   in Loop: Header=BB2_90 Depth=1
	s_delay_alu instid0(SALU_CYCLE_1)
	s_and_not1_b32 vcc_lo, exec_lo, s0
	s_cbranch_vccnz .LBB2_248
; %bb.247:                              ;   in Loop: Header=BB2_90 Depth=1
	v_mov_b32_e32 v31, v40
	s_get_pc_i64 s[0:1]
	s_add_nc_u64 s[0:1], s[0:1], _Z47ncclDevFunc_AllReduce_RING_SIMPLE_Sum_f16_0_0_4v@rel64+4
	s_mov_b64 s[4:5], s[48:49]
	s_mov_b64 s[6:7], s[38:39]
	;; [unrolled: 1-line block ×4, first 2 shown]
	s_swap_pc_i64 s[30:31], s[0:1]
.LBB2_248:                              ;   in Loop: Header=BB2_90 Depth=1
	s_mov_b32 s0, 0
.LBB2_249:                              ;   in Loop: Header=BB2_90 Depth=1
	s_delay_alu instid0(SALU_CYCLE_1)
	s_and_not1_b32 vcc_lo, exec_lo, s0
	s_cbranch_vccnz .LBB2_251
; %bb.250:                              ;   in Loop: Header=BB2_90 Depth=1
	v_mov_b32_e32 v31, v40
	s_get_pc_i64 s[0:1]
	s_add_nc_u64 s[0:1], s[0:1], _Z47ncclDevFunc_AllReduce_RING_SIMPLE_Sum_u64_0_0_4v@rel64+4
	s_mov_b64 s[4:5], s[48:49]
	s_mov_b64 s[6:7], s[38:39]
	;; [unrolled: 1-line block ×4, first 2 shown]
	s_swap_pc_i64 s[30:31], s[0:1]
.LBB2_251:                              ;   in Loop: Header=BB2_90 Depth=1
	s_mov_b32 s0, 0
.LBB2_252:                              ;   in Loop: Header=BB2_90 Depth=1
	s_delay_alu instid0(SALU_CYCLE_1)
	s_and_not1_b32 vcc_lo, exec_lo, s0
	s_cbranch_vccnz .LBB2_264
; %bb.253:                              ;   in Loop: Header=BB2_90 Depth=1
	s_cmp_gt_u32 s101, 0x5a
	s_mov_b32 s0, -1
	s_cbranch_scc0 .LBB2_259
; %bb.254:                              ;   in Loop: Header=BB2_90 Depth=1
	s_cmp_lg_u32 s101, 0x5b
	s_cbranch_scc0 .LBB2_256
; %bb.255:                              ;   in Loop: Header=BB2_90 Depth=1
	v_mov_b32_e32 v31, v40
	s_get_pc_i64 s[0:1]
	s_add_nc_u64 s[0:1], s[0:1], _Z47ncclDevFunc_AllReduce_RING_SIMPLE_Sum_u32_0_0_4v@rel64+4
	s_mov_b64 s[4:5], s[48:49]
	s_mov_b64 s[6:7], s[38:39]
	;; [unrolled: 1-line block ×4, first 2 shown]
	s_swap_pc_i64 s[30:31], s[0:1]
	s_mov_b32 s0, 0
.LBB2_256:                              ;   in Loop: Header=BB2_90 Depth=1
	s_delay_alu instid0(SALU_CYCLE_1)
	s_and_not1_b32 vcc_lo, exec_lo, s0
	s_cbranch_vccnz .LBB2_258
; %bb.257:                              ;   in Loop: Header=BB2_90 Depth=1
	v_mov_b32_e32 v31, v40
	s_get_pc_i64 s[0:1]
	s_add_nc_u64 s[0:1], s[0:1], _Z46ncclDevFunc_AllReduce_RING_SIMPLE_Sum_u8_0_0_4v@rel64+4
	s_mov_b64 s[4:5], s[48:49]
	s_mov_b64 s[6:7], s[38:39]
	s_mov_b64 s[8:9], s[50:51]
	s_mov_b64 s[10:11], s[34:35]
	s_swap_pc_i64 s[30:31], s[0:1]
.LBB2_258:                              ;   in Loop: Header=BB2_90 Depth=1
	s_mov_b32 s0, 0
.LBB2_259:                              ;   in Loop: Header=BB2_90 Depth=1
	s_delay_alu instid0(SALU_CYCLE_1)
	s_and_not1_b32 vcc_lo, exec_lo, s0
	s_cbranch_vccnz .LBB2_264
; %bb.260:                              ;   in Loop: Header=BB2_90 Depth=1
	s_cmp_eq_u32 s101, 0x5a
	s_mov_b32 s0, -1
	s_cbranch_scc1 .LBB2_262
; %bb.261:                              ;   in Loop: Header=BB2_90 Depth=1
	v_mov_b32_e32 v31, v40
	s_get_pc_i64 s[0:1]
	s_add_nc_u64 s[0:1], s[0:1], _Z54ncclDevFunc_ReduceScatter_RING_LL_SumPostDiv_u32_0_0_4v@rel64+4
	s_mov_b64 s[4:5], s[48:49]
	s_mov_b64 s[6:7], s[38:39]
	;; [unrolled: 1-line block ×4, first 2 shown]
	s_swap_pc_i64 s[30:31], s[0:1]
	s_mov_b32 s0, 0
.LBB2_262:                              ;   in Loop: Header=BB2_90 Depth=1
	s_delay_alu instid0(SALU_CYCLE_1)
	s_and_not1_b32 vcc_lo, exec_lo, s0
	s_cbranch_vccnz .LBB2_264
; %bb.263:                              ;   in Loop: Header=BB2_90 Depth=1
	v_mov_b32_e32 v31, v40
	s_get_pc_i64 s[0:1]
	s_add_nc_u64 s[0:1], s[0:1], _Z54ncclDevFunc_ReduceScatter_RING_LL_SumPostDiv_u64_0_0_4v@rel64+4
	s_mov_b64 s[4:5], s[48:49]
	s_mov_b64 s[6:7], s[38:39]
	;; [unrolled: 1-line block ×4, first 2 shown]
	s_swap_pc_i64 s[30:31], s[0:1]
.LBB2_264:                              ;   in Loop: Header=BB2_90 Depth=1
	s_mov_b32 s0, 0
.LBB2_265:                              ;   in Loop: Header=BB2_90 Depth=1
	s_delay_alu instid0(SALU_CYCLE_1)
	s_and_not1_b32 vcc_lo, exec_lo, s0
	s_cbranch_vccnz .LBB2_576
; %bb.266:                              ;   in Loop: Header=BB2_90 Depth=1
	s_and_b32 s101, 0xffff, s100
	s_mov_b32 s0, -1
	s_cmp_gt_u32 s101, 43
	s_cbranch_scc0 .LBB2_421
; %bb.267:                              ;   in Loop: Header=BB2_90 Depth=1
	s_cmp_gt_u32 s101, 0x41
	s_cbranch_scc0 .LBB2_350
; %bb.268:                              ;   in Loop: Header=BB2_90 Depth=1
	;; [unrolled: 3-line block ×5, first 2 shown]
	s_sext_i32_i16 s0, s100
	s_delay_alu instid0(SALU_CYCLE_1)
	s_cmp_lt_i32 s0, 0x57
	s_mov_b32 s0, -1
	s_cbranch_scc1 .LBB2_277
; %bb.272:                              ;   in Loop: Header=BB2_90 Depth=1
	s_cmp_lg_u32 s101, 0x57
	s_cbranch_scc0 .LBB2_274
; %bb.273:                              ;   in Loop: Header=BB2_90 Depth=1
	v_mov_b32_e32 v31, v40
	s_get_pc_i64 s[0:1]
	s_add_nc_u64 s[0:1], s[0:1], _Z53ncclDevFunc_ReduceScatter_RING_LL_SumPostDiv_u8_0_0_4v@rel64+4
	s_mov_b64 s[4:5], s[48:49]
	s_mov_b64 s[6:7], s[38:39]
	;; [unrolled: 1-line block ×4, first 2 shown]
	s_swap_pc_i64 s[30:31], s[0:1]
	s_mov_b32 s0, 0
.LBB2_274:                              ;   in Loop: Header=BB2_90 Depth=1
	s_delay_alu instid0(SALU_CYCLE_1)
	s_and_not1_b32 vcc_lo, exec_lo, s0
	s_cbranch_vccnz .LBB2_276
; %bb.275:                              ;   in Loop: Header=BB2_90 Depth=1
	v_mov_b32_e32 v31, v40
	s_get_pc_i64 s[0:1]
	s_add_nc_u64 s[0:1], s[0:1], _Z56ncclDevFunc_ReduceScatter_RING_LL_PreMulSum_f8e5m2_0_0_4v@rel64+4
	s_mov_b64 s[4:5], s[48:49]
	s_mov_b64 s[6:7], s[38:39]
	;; [unrolled: 1-line block ×4, first 2 shown]
	s_swap_pc_i64 s[30:31], s[0:1]
.LBB2_276:                              ;   in Loop: Header=BB2_90 Depth=1
	s_mov_b32 s0, 0
.LBB2_277:                              ;   in Loop: Header=BB2_90 Depth=1
	s_delay_alu instid0(SALU_CYCLE_1)
	s_and_not1_b32 vcc_lo, exec_lo, s0
	s_cbranch_vccnz .LBB2_279
; %bb.278:                              ;   in Loop: Header=BB2_90 Depth=1
	v_mov_b32_e32 v31, v40
	s_get_pc_i64 s[0:1]
	s_add_nc_u64 s[0:1], s[0:1], _Z56ncclDevFunc_ReduceScatter_RING_LL_PreMulSum_f8e4m3_0_0_4v@rel64+4
	s_mov_b64 s[4:5], s[48:49]
	s_mov_b64 s[6:7], s[38:39]
	;; [unrolled: 1-line block ×4, first 2 shown]
	s_swap_pc_i64 s[30:31], s[0:1]
.LBB2_279:                              ;   in Loop: Header=BB2_90 Depth=1
	s_mov_b32 s0, 0
.LBB2_280:                              ;   in Loop: Header=BB2_90 Depth=1
	s_delay_alu instid0(SALU_CYCLE_1)
	s_and_b32 vcc_lo, exec_lo, s0
	s_cbranch_vccz .LBB2_289
; %bb.281:                              ;   in Loop: Header=BB2_90 Depth=1
	s_sext_i32_i16 s0, s100
	s_delay_alu instid0(SALU_CYCLE_1)
	s_cmp_lt_i32 s0, 0x54
	s_mov_b32 s0, -1
	s_cbranch_scc1 .LBB2_287
; %bb.282:                              ;   in Loop: Header=BB2_90 Depth=1
	s_cmp_lg_u32 s101, 0x54
	s_cbranch_scc0 .LBB2_284
; %bb.283:                              ;   in Loop: Header=BB2_90 Depth=1
	v_mov_b32_e32 v31, v40
	s_get_pc_i64 s[0:1]
	s_add_nc_u64 s[0:1], s[0:1], _Z54ncclDevFunc_ReduceScatter_RING_LL_PreMulSum_bf16_0_0_4v@rel64+4
	s_mov_b64 s[4:5], s[48:49]
	s_mov_b64 s[6:7], s[38:39]
	;; [unrolled: 1-line block ×4, first 2 shown]
	s_swap_pc_i64 s[30:31], s[0:1]
	s_mov_b32 s0, 0
.LBB2_284:                              ;   in Loop: Header=BB2_90 Depth=1
	s_delay_alu instid0(SALU_CYCLE_1)
	s_and_not1_b32 vcc_lo, exec_lo, s0
	s_cbranch_vccnz .LBB2_286
; %bb.285:                              ;   in Loop: Header=BB2_90 Depth=1
	v_mov_b32_e32 v31, v40
	s_get_pc_i64 s[0:1]
	s_add_nc_u64 s[0:1], s[0:1], _Z53ncclDevFunc_ReduceScatter_RING_LL_PreMulSum_f64_0_0_4v@rel64+4
	s_mov_b64 s[4:5], s[48:49]
	s_mov_b64 s[6:7], s[38:39]
	;; [unrolled: 1-line block ×4, first 2 shown]
	s_swap_pc_i64 s[30:31], s[0:1]
.LBB2_286:                              ;   in Loop: Header=BB2_90 Depth=1
	s_mov_b32 s0, 0
.LBB2_287:                              ;   in Loop: Header=BB2_90 Depth=1
	s_delay_alu instid0(SALU_CYCLE_1)
	s_and_not1_b32 vcc_lo, exec_lo, s0
	s_cbranch_vccnz .LBB2_289
; %bb.288:                              ;   in Loop: Header=BB2_90 Depth=1
	v_mov_b32_e32 v31, v40
	s_get_pc_i64 s[0:1]
	s_add_nc_u64 s[0:1], s[0:1], _Z53ncclDevFunc_ReduceScatter_RING_LL_PreMulSum_f32_0_0_4v@rel64+4
	s_mov_b64 s[4:5], s[48:49]
	s_mov_b64 s[6:7], s[38:39]
	;; [unrolled: 1-line block ×4, first 2 shown]
	s_swap_pc_i64 s[30:31], s[0:1]
.LBB2_289:                              ;   in Loop: Header=BB2_90 Depth=1
	s_mov_b32 s0, 0
.LBB2_290:                              ;   in Loop: Header=BB2_90 Depth=1
	s_delay_alu instid0(SALU_CYCLE_1)
	s_and_not1_b32 vcc_lo, exec_lo, s0
	s_cbranch_vccnz .LBB2_310
; %bb.291:                              ;   in Loop: Header=BB2_90 Depth=1
	s_cmp_gt_u32 s101, 0x4f
	s_mov_b32 s0, -1
	s_cbranch_scc0 .LBB2_301
; %bb.292:                              ;   in Loop: Header=BB2_90 Depth=1
	s_sext_i32_i16 s0, s100
	s_delay_alu instid0(SALU_CYCLE_1)
	s_cmp_lt_i32 s0, 0x51
	s_mov_b32 s0, -1
	s_cbranch_scc1 .LBB2_298
; %bb.293:                              ;   in Loop: Header=BB2_90 Depth=1
	s_cmp_lg_u32 s101, 0x51
	s_cbranch_scc0 .LBB2_295
; %bb.294:                              ;   in Loop: Header=BB2_90 Depth=1
	v_mov_b32_e32 v31, v40
	s_get_pc_i64 s[0:1]
	s_add_nc_u64 s[0:1], s[0:1], _Z53ncclDevFunc_ReduceScatter_RING_LL_PreMulSum_f16_0_0_4v@rel64+4
	s_mov_b64 s[4:5], s[48:49]
	s_mov_b64 s[6:7], s[38:39]
	;; [unrolled: 1-line block ×4, first 2 shown]
	s_swap_pc_i64 s[30:31], s[0:1]
	s_mov_b32 s0, 0
.LBB2_295:                              ;   in Loop: Header=BB2_90 Depth=1
	s_delay_alu instid0(SALU_CYCLE_1)
	s_and_not1_b32 vcc_lo, exec_lo, s0
	s_cbranch_vccnz .LBB2_297
; %bb.296:                              ;   in Loop: Header=BB2_90 Depth=1
	v_mov_b32_e32 v31, v40
	s_get_pc_i64 s[0:1]
	s_add_nc_u64 s[0:1], s[0:1], _Z53ncclDevFunc_ReduceScatter_RING_LL_PreMulSum_u64_0_0_4v@rel64+4
	s_mov_b64 s[4:5], s[48:49]
	s_mov_b64 s[6:7], s[38:39]
	;; [unrolled: 1-line block ×4, first 2 shown]
	s_swap_pc_i64 s[30:31], s[0:1]
.LBB2_297:                              ;   in Loop: Header=BB2_90 Depth=1
	s_mov_b32 s0, 0
.LBB2_298:                              ;   in Loop: Header=BB2_90 Depth=1
	s_delay_alu instid0(SALU_CYCLE_1)
	s_and_not1_b32 vcc_lo, exec_lo, s0
	s_cbranch_vccnz .LBB2_300
; %bb.299:                              ;   in Loop: Header=BB2_90 Depth=1
	v_mov_b32_e32 v31, v40
	s_get_pc_i64 s[0:1]
	s_add_nc_u64 s[0:1], s[0:1], _Z53ncclDevFunc_ReduceScatter_RING_LL_PreMulSum_u32_0_0_4v@rel64+4
	s_mov_b64 s[4:5], s[48:49]
	s_mov_b64 s[6:7], s[38:39]
	;; [unrolled: 1-line block ×4, first 2 shown]
	s_swap_pc_i64 s[30:31], s[0:1]
.LBB2_300:                              ;   in Loop: Header=BB2_90 Depth=1
	s_mov_b32 s0, 0
.LBB2_301:                              ;   in Loop: Header=BB2_90 Depth=1
	s_delay_alu instid0(SALU_CYCLE_1)
	s_and_b32 vcc_lo, exec_lo, s0
	s_cbranch_vccz .LBB2_310
; %bb.302:                              ;   in Loop: Header=BB2_90 Depth=1
	s_sext_i32_i16 s0, s100
	s_delay_alu instid0(SALU_CYCLE_1)
	s_cmp_lt_i32 s0, 0x4e
	s_mov_b32 s0, -1
	s_cbranch_scc1 .LBB2_308
; %bb.303:                              ;   in Loop: Header=BB2_90 Depth=1
	s_cmp_lg_u32 s101, 0x4e
	s_cbranch_scc0 .LBB2_305
; %bb.304:                              ;   in Loop: Header=BB2_90 Depth=1
	v_mov_b32_e32 v31, v40
	s_get_pc_i64 s[0:1]
	s_add_nc_u64 s[0:1], s[0:1], _Z52ncclDevFunc_ReduceScatter_RING_LL_PreMulSum_u8_0_0_4v@rel64+4
	s_mov_b64 s[4:5], s[48:49]
	s_mov_b64 s[6:7], s[38:39]
	;; [unrolled: 1-line block ×4, first 2 shown]
	s_swap_pc_i64 s[30:31], s[0:1]
	s_mov_b32 s0, 0
.LBB2_305:                              ;   in Loop: Header=BB2_90 Depth=1
	s_delay_alu instid0(SALU_CYCLE_1)
	s_and_not1_b32 vcc_lo, exec_lo, s0
	s_cbranch_vccnz .LBB2_307
; %bb.306:                              ;   in Loop: Header=BB2_90 Depth=1
	v_mov_b32_e32 v31, v40
	s_get_pc_i64 s[0:1]
	s_add_nc_u64 s[0:1], s[0:1], _Z53ncclDevFunc_ReduceScatter_RING_LL_MinMax_f8e5m2_0_0_4v@rel64+4
	s_mov_b64 s[4:5], s[48:49]
	s_mov_b64 s[6:7], s[38:39]
	;; [unrolled: 1-line block ×4, first 2 shown]
	s_swap_pc_i64 s[30:31], s[0:1]
.LBB2_307:                              ;   in Loop: Header=BB2_90 Depth=1
	s_mov_b32 s0, 0
.LBB2_308:                              ;   in Loop: Header=BB2_90 Depth=1
	s_delay_alu instid0(SALU_CYCLE_1)
	s_and_not1_b32 vcc_lo, exec_lo, s0
	s_cbranch_vccnz .LBB2_310
; %bb.309:                              ;   in Loop: Header=BB2_90 Depth=1
	v_mov_b32_e32 v31, v40
	s_get_pc_i64 s[0:1]
	s_add_nc_u64 s[0:1], s[0:1], _Z53ncclDevFunc_ReduceScatter_RING_LL_MinMax_f8e4m3_0_0_4v@rel64+4
	s_mov_b64 s[4:5], s[48:49]
	s_mov_b64 s[6:7], s[38:39]
	;; [unrolled: 1-line block ×4, first 2 shown]
	s_swap_pc_i64 s[30:31], s[0:1]
.LBB2_310:                              ;   in Loop: Header=BB2_90 Depth=1
	s_mov_b32 s0, 0
.LBB2_311:                              ;   in Loop: Header=BB2_90 Depth=1
	s_delay_alu instid0(SALU_CYCLE_1)
	s_and_not1_b32 vcc_lo, exec_lo, s0
	s_cbranch_vccnz .LBB2_349
; %bb.312:                              ;   in Loop: Header=BB2_90 Depth=1
	s_cmp_gt_u32 s101, 0x46
	s_mov_b32 s0, -1
	s_cbranch_scc0 .LBB2_333
; %bb.313:                              ;   in Loop: Header=BB2_90 Depth=1
	s_cmp_gt_u32 s101, 0x49
	s_cbranch_scc0 .LBB2_323
; %bb.314:                              ;   in Loop: Header=BB2_90 Depth=1
	s_sext_i32_i16 s0, s100
	s_delay_alu instid0(SALU_CYCLE_1)
	s_cmp_lt_i32 s0, 0x4b
	s_mov_b32 s0, -1
	s_cbranch_scc1 .LBB2_320
; %bb.315:                              ;   in Loop: Header=BB2_90 Depth=1
	s_cmp_lg_u32 s101, 0x4b
	s_cbranch_scc0 .LBB2_317
; %bb.316:                              ;   in Loop: Header=BB2_90 Depth=1
	v_mov_b32_e32 v31, v40
	s_get_pc_i64 s[0:1]
	s_add_nc_u64 s[0:1], s[0:1], _Z51ncclDevFunc_ReduceScatter_RING_LL_MinMax_bf16_0_0_4v@rel64+4
	s_mov_b64 s[4:5], s[48:49]
	s_mov_b64 s[6:7], s[38:39]
	s_mov_b64 s[8:9], s[50:51]
	s_mov_b64 s[10:11], s[34:35]
	s_swap_pc_i64 s[30:31], s[0:1]
	s_mov_b32 s0, 0
.LBB2_317:                              ;   in Loop: Header=BB2_90 Depth=1
	s_delay_alu instid0(SALU_CYCLE_1)
	s_and_not1_b32 vcc_lo, exec_lo, s0
	s_cbranch_vccnz .LBB2_319
; %bb.318:                              ;   in Loop: Header=BB2_90 Depth=1
	v_mov_b32_e32 v31, v40
	s_get_pc_i64 s[0:1]
	s_add_nc_u64 s[0:1], s[0:1], _Z50ncclDevFunc_ReduceScatter_RING_LL_MinMax_f64_0_0_4v@rel64+4
	s_mov_b64 s[4:5], s[48:49]
	s_mov_b64 s[6:7], s[38:39]
	;; [unrolled: 1-line block ×4, first 2 shown]
	s_swap_pc_i64 s[30:31], s[0:1]
.LBB2_319:                              ;   in Loop: Header=BB2_90 Depth=1
	s_mov_b32 s0, 0
.LBB2_320:                              ;   in Loop: Header=BB2_90 Depth=1
	s_delay_alu instid0(SALU_CYCLE_1)
	s_and_not1_b32 vcc_lo, exec_lo, s0
	s_cbranch_vccnz .LBB2_322
; %bb.321:                              ;   in Loop: Header=BB2_90 Depth=1
	v_mov_b32_e32 v31, v40
	s_get_pc_i64 s[0:1]
	s_add_nc_u64 s[0:1], s[0:1], _Z50ncclDevFunc_ReduceScatter_RING_LL_MinMax_f32_0_0_4v@rel64+4
	s_mov_b64 s[4:5], s[48:49]
	s_mov_b64 s[6:7], s[38:39]
	;; [unrolled: 1-line block ×4, first 2 shown]
	s_swap_pc_i64 s[30:31], s[0:1]
.LBB2_322:                              ;   in Loop: Header=BB2_90 Depth=1
	s_mov_b32 s0, 0
.LBB2_323:                              ;   in Loop: Header=BB2_90 Depth=1
	s_delay_alu instid0(SALU_CYCLE_1)
	s_and_b32 vcc_lo, exec_lo, s0
	s_cbranch_vccz .LBB2_332
; %bb.324:                              ;   in Loop: Header=BB2_90 Depth=1
	s_sext_i32_i16 s0, s100
	s_delay_alu instid0(SALU_CYCLE_1)
	s_cmp_lt_i32 s0, 0x48
	s_mov_b32 s0, -1
	s_cbranch_scc1 .LBB2_330
; %bb.325:                              ;   in Loop: Header=BB2_90 Depth=1
	s_cmp_lg_u32 s101, 0x48
	s_cbranch_scc0 .LBB2_327
; %bb.326:                              ;   in Loop: Header=BB2_90 Depth=1
	v_mov_b32_e32 v31, v40
	s_get_pc_i64 s[0:1]
	s_add_nc_u64 s[0:1], s[0:1], _Z50ncclDevFunc_ReduceScatter_RING_LL_MinMax_f16_0_0_4v@rel64+4
	s_mov_b64 s[4:5], s[48:49]
	s_mov_b64 s[6:7], s[38:39]
	;; [unrolled: 1-line block ×4, first 2 shown]
	s_swap_pc_i64 s[30:31], s[0:1]
	s_mov_b32 s0, 0
.LBB2_327:                              ;   in Loop: Header=BB2_90 Depth=1
	s_delay_alu instid0(SALU_CYCLE_1)
	s_and_not1_b32 vcc_lo, exec_lo, s0
	s_cbranch_vccnz .LBB2_329
; %bb.328:                              ;   in Loop: Header=BB2_90 Depth=1
	v_mov_b32_e32 v31, v40
	s_get_pc_i64 s[0:1]
	s_add_nc_u64 s[0:1], s[0:1], _Z50ncclDevFunc_ReduceScatter_RING_LL_MinMax_u64_0_0_4v@rel64+4
	s_mov_b64 s[4:5], s[48:49]
	s_mov_b64 s[6:7], s[38:39]
	;; [unrolled: 1-line block ×4, first 2 shown]
	s_swap_pc_i64 s[30:31], s[0:1]
.LBB2_329:                              ;   in Loop: Header=BB2_90 Depth=1
	s_mov_b32 s0, 0
.LBB2_330:                              ;   in Loop: Header=BB2_90 Depth=1
	s_delay_alu instid0(SALU_CYCLE_1)
	s_and_not1_b32 vcc_lo, exec_lo, s0
	s_cbranch_vccnz .LBB2_332
; %bb.331:                              ;   in Loop: Header=BB2_90 Depth=1
	v_mov_b32_e32 v31, v40
	s_get_pc_i64 s[0:1]
	s_add_nc_u64 s[0:1], s[0:1], _Z50ncclDevFunc_ReduceScatter_RING_LL_MinMax_u32_0_0_4v@rel64+4
	s_mov_b64 s[4:5], s[48:49]
	s_mov_b64 s[6:7], s[38:39]
	;; [unrolled: 1-line block ×4, first 2 shown]
	s_swap_pc_i64 s[30:31], s[0:1]
.LBB2_332:                              ;   in Loop: Header=BB2_90 Depth=1
	s_mov_b32 s0, 0
.LBB2_333:                              ;   in Loop: Header=BB2_90 Depth=1
	s_delay_alu instid0(SALU_CYCLE_1)
	s_and_not1_b32 vcc_lo, exec_lo, s0
	s_cbranch_vccnz .LBB2_349
; %bb.334:                              ;   in Loop: Header=BB2_90 Depth=1
	s_cmp_gt_u32 s101, 0x43
	s_mov_b32 s0, -1
	s_cbranch_scc0 .LBB2_344
; %bb.335:                              ;   in Loop: Header=BB2_90 Depth=1
	s_sext_i32_i16 s0, s100
	s_delay_alu instid0(SALU_CYCLE_1)
	s_cmp_lt_i32 s0, 0x45
	s_mov_b32 s0, -1
	s_cbranch_scc1 .LBB2_341
; %bb.336:                              ;   in Loop: Header=BB2_90 Depth=1
	s_cmp_lg_u32 s101, 0x45
	s_cbranch_scc0 .LBB2_338
; %bb.337:                              ;   in Loop: Header=BB2_90 Depth=1
	v_mov_b32_e32 v31, v40
	s_get_pc_i64 s[0:1]
	s_add_nc_u64 s[0:1], s[0:1], _Z49ncclDevFunc_ReduceScatter_RING_LL_MinMax_u8_0_0_4v@rel64+4
	s_mov_b64 s[4:5], s[48:49]
	s_mov_b64 s[6:7], s[38:39]
	;; [unrolled: 1-line block ×4, first 2 shown]
	s_swap_pc_i64 s[30:31], s[0:1]
	s_mov_b32 s0, 0
.LBB2_338:                              ;   in Loop: Header=BB2_90 Depth=1
	s_delay_alu instid0(SALU_CYCLE_1)
	s_and_not1_b32 vcc_lo, exec_lo, s0
	s_cbranch_vccnz .LBB2_340
; %bb.339:                              ;   in Loop: Header=BB2_90 Depth=1
	v_mov_b32_e32 v31, v40
	s_get_pc_i64 s[0:1]
	s_add_nc_u64 s[0:1], s[0:1], _Z51ncclDevFunc_ReduceScatter_RING_LL_Prod_f8e5m2_0_0_4v@rel64+4
	s_mov_b64 s[4:5], s[48:49]
	s_mov_b64 s[6:7], s[38:39]
	;; [unrolled: 1-line block ×4, first 2 shown]
	s_swap_pc_i64 s[30:31], s[0:1]
.LBB2_340:                              ;   in Loop: Header=BB2_90 Depth=1
	s_mov_b32 s0, 0
.LBB2_341:                              ;   in Loop: Header=BB2_90 Depth=1
	s_delay_alu instid0(SALU_CYCLE_1)
	s_and_not1_b32 vcc_lo, exec_lo, s0
	s_cbranch_vccnz .LBB2_343
; %bb.342:                              ;   in Loop: Header=BB2_90 Depth=1
	v_mov_b32_e32 v31, v40
	s_get_pc_i64 s[0:1]
	s_add_nc_u64 s[0:1], s[0:1], _Z51ncclDevFunc_ReduceScatter_RING_LL_Prod_f8e4m3_0_0_4v@rel64+4
	s_mov_b64 s[4:5], s[48:49]
	s_mov_b64 s[6:7], s[38:39]
	;; [unrolled: 1-line block ×4, first 2 shown]
	s_swap_pc_i64 s[30:31], s[0:1]
.LBB2_343:                              ;   in Loop: Header=BB2_90 Depth=1
	s_mov_b32 s0, 0
.LBB2_344:                              ;   in Loop: Header=BB2_90 Depth=1
	s_delay_alu instid0(SALU_CYCLE_1)
	s_and_b32 vcc_lo, exec_lo, s0
	s_cbranch_vccz .LBB2_349
; %bb.345:                              ;   in Loop: Header=BB2_90 Depth=1
	s_cmp_eq_u32 s101, 0x43
	s_mov_b32 s0, -1
	s_cbranch_scc1 .LBB2_347
; %bb.346:                              ;   in Loop: Header=BB2_90 Depth=1
	v_mov_b32_e32 v31, v40
	s_get_pc_i64 s[0:1]
	s_add_nc_u64 s[0:1], s[0:1], _Z48ncclDevFunc_ReduceScatter_RING_LL_Prod_f64_0_0_4v@rel64+4
	s_mov_b64 s[4:5], s[48:49]
	s_mov_b64 s[6:7], s[38:39]
	;; [unrolled: 1-line block ×4, first 2 shown]
	s_swap_pc_i64 s[30:31], s[0:1]
	s_mov_b32 s0, 0
.LBB2_347:                              ;   in Loop: Header=BB2_90 Depth=1
	s_delay_alu instid0(SALU_CYCLE_1)
	s_and_not1_b32 vcc_lo, exec_lo, s0
	s_cbranch_vccnz .LBB2_349
; %bb.348:                              ;   in Loop: Header=BB2_90 Depth=1
	v_mov_b32_e32 v31, v40
	s_get_pc_i64 s[0:1]
	s_add_nc_u64 s[0:1], s[0:1], _Z49ncclDevFunc_ReduceScatter_RING_LL_Prod_bf16_0_0_4v@rel64+4
	s_mov_b64 s[4:5], s[48:49]
	s_mov_b64 s[6:7], s[38:39]
	;; [unrolled: 1-line block ×4, first 2 shown]
	s_swap_pc_i64 s[30:31], s[0:1]
.LBB2_349:                              ;   in Loop: Header=BB2_90 Depth=1
	s_mov_b32 s0, 0
.LBB2_350:                              ;   in Loop: Header=BB2_90 Depth=1
	s_delay_alu instid0(SALU_CYCLE_1)
	s_and_not1_b32 vcc_lo, exec_lo, s0
	s_cbranch_vccnz .LBB2_420
; %bb.351:                              ;   in Loop: Header=BB2_90 Depth=1
	s_cmp_gt_u32 s101, 54
	s_mov_b32 s0, -1
	s_cbranch_scc0 .LBB2_390
; %bb.352:                              ;   in Loop: Header=BB2_90 Depth=1
	s_cmp_gt_u32 s101, 59
	s_cbranch_scc0 .LBB2_373
; %bb.353:                              ;   in Loop: Header=BB2_90 Depth=1
	s_cmp_gt_u32 s101, 62
	s_cbranch_scc0 .LBB2_363
; %bb.354:                              ;   in Loop: Header=BB2_90 Depth=1
	s_sext_i32_i16 s0, s100
	s_delay_alu instid0(SALU_CYCLE_1)
	s_cmp_lt_i32 s0, 64
	s_mov_b32 s0, -1
	s_cbranch_scc1 .LBB2_360
; %bb.355:                              ;   in Loop: Header=BB2_90 Depth=1
	s_cmp_lg_u32 s101, 64
	s_cbranch_scc0 .LBB2_357
; %bb.356:                              ;   in Loop: Header=BB2_90 Depth=1
	v_mov_b32_e32 v31, v40
	s_get_pc_i64 s[0:1]
	s_add_nc_u64 s[0:1], s[0:1], _Z48ncclDevFunc_ReduceScatter_RING_LL_Prod_f32_0_0_4v@rel64+4
	s_mov_b64 s[4:5], s[48:49]
	s_mov_b64 s[6:7], s[38:39]
	;; [unrolled: 1-line block ×4, first 2 shown]
	s_swap_pc_i64 s[30:31], s[0:1]
	s_mov_b32 s0, 0
.LBB2_357:                              ;   in Loop: Header=BB2_90 Depth=1
	s_delay_alu instid0(SALU_CYCLE_1)
	s_and_not1_b32 vcc_lo, exec_lo, s0
	s_cbranch_vccnz .LBB2_359
; %bb.358:                              ;   in Loop: Header=BB2_90 Depth=1
	v_mov_b32_e32 v31, v40
	s_get_pc_i64 s[0:1]
	s_add_nc_u64 s[0:1], s[0:1], _Z48ncclDevFunc_ReduceScatter_RING_LL_Prod_f16_0_0_4v@rel64+4
	s_mov_b64 s[4:5], s[48:49]
	s_mov_b64 s[6:7], s[38:39]
	;; [unrolled: 1-line block ×4, first 2 shown]
	s_swap_pc_i64 s[30:31], s[0:1]
.LBB2_359:                              ;   in Loop: Header=BB2_90 Depth=1
	s_mov_b32 s0, 0
.LBB2_360:                              ;   in Loop: Header=BB2_90 Depth=1
	s_delay_alu instid0(SALU_CYCLE_1)
	s_and_not1_b32 vcc_lo, exec_lo, s0
	s_cbranch_vccnz .LBB2_362
; %bb.361:                              ;   in Loop: Header=BB2_90 Depth=1
	v_mov_b32_e32 v31, v40
	s_get_pc_i64 s[0:1]
	s_add_nc_u64 s[0:1], s[0:1], _Z48ncclDevFunc_ReduceScatter_RING_LL_Prod_u64_0_0_4v@rel64+4
	s_mov_b64 s[4:5], s[48:49]
	s_mov_b64 s[6:7], s[38:39]
	;; [unrolled: 1-line block ×4, first 2 shown]
	s_swap_pc_i64 s[30:31], s[0:1]
.LBB2_362:                              ;   in Loop: Header=BB2_90 Depth=1
	s_mov_b32 s0, 0
.LBB2_363:                              ;   in Loop: Header=BB2_90 Depth=1
	s_delay_alu instid0(SALU_CYCLE_1)
	s_and_b32 vcc_lo, exec_lo, s0
	s_cbranch_vccz .LBB2_372
; %bb.364:                              ;   in Loop: Header=BB2_90 Depth=1
	s_sext_i32_i16 s0, s100
	s_delay_alu instid0(SALU_CYCLE_1)
	s_cmp_lt_i32 s0, 61
	s_mov_b32 s0, -1
	s_cbranch_scc1 .LBB2_370
; %bb.365:                              ;   in Loop: Header=BB2_90 Depth=1
	s_cmp_lg_u32 s101, 61
	s_cbranch_scc0 .LBB2_367
; %bb.366:                              ;   in Loop: Header=BB2_90 Depth=1
	v_mov_b32_e32 v31, v40
	s_get_pc_i64 s[0:1]
	s_add_nc_u64 s[0:1], s[0:1], _Z48ncclDevFunc_ReduceScatter_RING_LL_Prod_u32_0_0_4v@rel64+4
	s_mov_b64 s[4:5], s[48:49]
	s_mov_b64 s[6:7], s[38:39]
	;; [unrolled: 1-line block ×4, first 2 shown]
	s_swap_pc_i64 s[30:31], s[0:1]
	s_mov_b32 s0, 0
.LBB2_367:                              ;   in Loop: Header=BB2_90 Depth=1
	s_delay_alu instid0(SALU_CYCLE_1)
	s_and_not1_b32 vcc_lo, exec_lo, s0
	s_cbranch_vccnz .LBB2_369
; %bb.368:                              ;   in Loop: Header=BB2_90 Depth=1
	v_mov_b32_e32 v31, v40
	s_get_pc_i64 s[0:1]
	s_add_nc_u64 s[0:1], s[0:1], _Z47ncclDevFunc_ReduceScatter_RING_LL_Prod_u8_0_0_4v@rel64+4
	s_mov_b64 s[4:5], s[48:49]
	s_mov_b64 s[6:7], s[38:39]
	;; [unrolled: 1-line block ×4, first 2 shown]
	s_swap_pc_i64 s[30:31], s[0:1]
.LBB2_369:                              ;   in Loop: Header=BB2_90 Depth=1
	s_mov_b32 s0, 0
.LBB2_370:                              ;   in Loop: Header=BB2_90 Depth=1
	s_delay_alu instid0(SALU_CYCLE_1)
	s_and_not1_b32 vcc_lo, exec_lo, s0
	s_cbranch_vccnz .LBB2_372
; %bb.371:                              ;   in Loop: Header=BB2_90 Depth=1
	v_mov_b32_e32 v31, v40
	s_get_pc_i64 s[0:1]
	s_add_nc_u64 s[0:1], s[0:1], _Z50ncclDevFunc_ReduceScatter_RING_LL_Sum_f8e5m2_0_0_4v@rel64+4
	s_mov_b64 s[4:5], s[48:49]
	s_mov_b64 s[6:7], s[38:39]
	;; [unrolled: 1-line block ×4, first 2 shown]
	s_swap_pc_i64 s[30:31], s[0:1]
.LBB2_372:                              ;   in Loop: Header=BB2_90 Depth=1
	s_mov_b32 s0, 0
.LBB2_373:                              ;   in Loop: Header=BB2_90 Depth=1
	s_delay_alu instid0(SALU_CYCLE_1)
	s_and_not1_b32 vcc_lo, exec_lo, s0
	s_cbranch_vccnz .LBB2_389
; %bb.374:                              ;   in Loop: Header=BB2_90 Depth=1
	s_cmp_gt_u32 s101, 56
	s_mov_b32 s0, -1
	s_cbranch_scc0 .LBB2_384
; %bb.375:                              ;   in Loop: Header=BB2_90 Depth=1
	s_sext_i32_i16 s0, s100
	s_delay_alu instid0(SALU_CYCLE_1)
	s_cmp_lt_i32 s0, 58
	s_mov_b32 s0, -1
	s_cbranch_scc1 .LBB2_381
; %bb.376:                              ;   in Loop: Header=BB2_90 Depth=1
	s_cmp_lg_u32 s101, 58
	s_cbranch_scc0 .LBB2_378
; %bb.377:                              ;   in Loop: Header=BB2_90 Depth=1
	v_mov_b32_e32 v31, v40
	s_get_pc_i64 s[0:1]
	s_add_nc_u64 s[0:1], s[0:1], _Z50ncclDevFunc_ReduceScatter_RING_LL_Sum_f8e4m3_0_0_4v@rel64+4
	s_mov_b64 s[4:5], s[48:49]
	s_mov_b64 s[6:7], s[38:39]
	s_mov_b64 s[8:9], s[50:51]
	s_mov_b64 s[10:11], s[34:35]
	s_swap_pc_i64 s[30:31], s[0:1]
	s_mov_b32 s0, 0
.LBB2_378:                              ;   in Loop: Header=BB2_90 Depth=1
	s_delay_alu instid0(SALU_CYCLE_1)
	s_and_not1_b32 vcc_lo, exec_lo, s0
	s_cbranch_vccnz .LBB2_380
; %bb.379:                              ;   in Loop: Header=BB2_90 Depth=1
	v_mov_b32_e32 v31, v40
	s_get_pc_i64 s[0:1]
	s_add_nc_u64 s[0:1], s[0:1], _Z48ncclDevFunc_ReduceScatter_RING_LL_Sum_bf16_0_0_4v@rel64+4
	s_mov_b64 s[4:5], s[48:49]
	s_mov_b64 s[6:7], s[38:39]
	;; [unrolled: 1-line block ×4, first 2 shown]
	s_swap_pc_i64 s[30:31], s[0:1]
.LBB2_380:                              ;   in Loop: Header=BB2_90 Depth=1
	s_mov_b32 s0, 0
.LBB2_381:                              ;   in Loop: Header=BB2_90 Depth=1
	s_delay_alu instid0(SALU_CYCLE_1)
	s_and_not1_b32 vcc_lo, exec_lo, s0
	s_cbranch_vccnz .LBB2_383
; %bb.382:                              ;   in Loop: Header=BB2_90 Depth=1
	v_mov_b32_e32 v31, v40
	s_get_pc_i64 s[0:1]
	s_add_nc_u64 s[0:1], s[0:1], _Z47ncclDevFunc_ReduceScatter_RING_LL_Sum_f64_0_0_4v@rel64+4
	s_mov_b64 s[4:5], s[48:49]
	s_mov_b64 s[6:7], s[38:39]
	;; [unrolled: 1-line block ×4, first 2 shown]
	s_swap_pc_i64 s[30:31], s[0:1]
.LBB2_383:                              ;   in Loop: Header=BB2_90 Depth=1
	s_mov_b32 s0, 0
.LBB2_384:                              ;   in Loop: Header=BB2_90 Depth=1
	s_delay_alu instid0(SALU_CYCLE_1)
	s_and_b32 vcc_lo, exec_lo, s0
	s_cbranch_vccz .LBB2_389
; %bb.385:                              ;   in Loop: Header=BB2_90 Depth=1
	s_cmp_eq_u32 s101, 56
	s_mov_b32 s0, -1
	s_cbranch_scc1 .LBB2_387
; %bb.386:                              ;   in Loop: Header=BB2_90 Depth=1
	v_mov_b32_e32 v31, v40
	s_get_pc_i64 s[0:1]
	s_add_nc_u64 s[0:1], s[0:1], _Z47ncclDevFunc_ReduceScatter_RING_LL_Sum_f16_0_0_4v@rel64+4
	s_mov_b64 s[4:5], s[48:49]
	s_mov_b64 s[6:7], s[38:39]
	;; [unrolled: 1-line block ×4, first 2 shown]
	s_swap_pc_i64 s[30:31], s[0:1]
	s_mov_b32 s0, 0
.LBB2_387:                              ;   in Loop: Header=BB2_90 Depth=1
	s_delay_alu instid0(SALU_CYCLE_1)
	s_and_not1_b32 vcc_lo, exec_lo, s0
	s_cbranch_vccnz .LBB2_389
; %bb.388:                              ;   in Loop: Header=BB2_90 Depth=1
	v_mov_b32_e32 v31, v40
	s_get_pc_i64 s[0:1]
	s_add_nc_u64 s[0:1], s[0:1], _Z47ncclDevFunc_ReduceScatter_RING_LL_Sum_f32_0_0_4v@rel64+4
	s_mov_b64 s[4:5], s[48:49]
	s_mov_b64 s[6:7], s[38:39]
	;; [unrolled: 1-line block ×4, first 2 shown]
	s_swap_pc_i64 s[30:31], s[0:1]
.LBB2_389:                              ;   in Loop: Header=BB2_90 Depth=1
	s_mov_b32 s0, 0
.LBB2_390:                              ;   in Loop: Header=BB2_90 Depth=1
	s_delay_alu instid0(SALU_CYCLE_1)
	s_and_not1_b32 vcc_lo, exec_lo, s0
	s_cbranch_vccnz .LBB2_420
; %bb.391:                              ;   in Loop: Header=BB2_90 Depth=1
	s_cmp_gt_u32 s101, 48
	s_mov_b32 s0, -1
	s_cbranch_scc0 .LBB2_408
; %bb.392:                              ;   in Loop: Header=BB2_90 Depth=1
	s_cmp_gt_u32 s101, 51
	s_cbranch_scc0 .LBB2_402
; %bb.393:                              ;   in Loop: Header=BB2_90 Depth=1
	s_sext_i32_i16 s0, s100
	s_delay_alu instid0(SALU_CYCLE_1)
	s_cmp_lt_i32 s0, 53
	s_mov_b32 s0, -1
	s_cbranch_scc1 .LBB2_399
; %bb.394:                              ;   in Loop: Header=BB2_90 Depth=1
	s_cmp_lg_u32 s101, 53
	s_cbranch_scc0 .LBB2_396
; %bb.395:                              ;   in Loop: Header=BB2_90 Depth=1
	v_mov_b32_e32 v31, v40
	s_get_pc_i64 s[0:1]
	s_add_nc_u64 s[0:1], s[0:1], _Z47ncclDevFunc_ReduceScatter_RING_LL_Sum_u64_0_0_4v@rel64+4
	s_mov_b64 s[4:5], s[48:49]
	s_mov_b64 s[6:7], s[38:39]
	;; [unrolled: 1-line block ×4, first 2 shown]
	s_swap_pc_i64 s[30:31], s[0:1]
	s_mov_b32 s0, 0
.LBB2_396:                              ;   in Loop: Header=BB2_90 Depth=1
	s_delay_alu instid0(SALU_CYCLE_1)
	s_and_not1_b32 vcc_lo, exec_lo, s0
	s_cbranch_vccnz .LBB2_398
; %bb.397:                              ;   in Loop: Header=BB2_90 Depth=1
	v_mov_b32_e32 v31, v40
	s_get_pc_i64 s[0:1]
	s_add_nc_u64 s[0:1], s[0:1], _Z47ncclDevFunc_ReduceScatter_RING_LL_Sum_u32_0_0_4v@rel64+4
	s_mov_b64 s[4:5], s[48:49]
	s_mov_b64 s[6:7], s[38:39]
	;; [unrolled: 1-line block ×4, first 2 shown]
	s_swap_pc_i64 s[30:31], s[0:1]
.LBB2_398:                              ;   in Loop: Header=BB2_90 Depth=1
	s_mov_b32 s0, 0
.LBB2_399:                              ;   in Loop: Header=BB2_90 Depth=1
	s_delay_alu instid0(SALU_CYCLE_1)
	s_and_not1_b32 vcc_lo, exec_lo, s0
	s_cbranch_vccnz .LBB2_401
; %bb.400:                              ;   in Loop: Header=BB2_90 Depth=1
	v_mov_b32_e32 v31, v40
	s_get_pc_i64 s[0:1]
	s_add_nc_u64 s[0:1], s[0:1], _Z46ncclDevFunc_ReduceScatter_RING_LL_Sum_u8_0_0_4v@rel64+4
	s_mov_b64 s[4:5], s[48:49]
	s_mov_b64 s[6:7], s[38:39]
	;; [unrolled: 1-line block ×4, first 2 shown]
	s_swap_pc_i64 s[30:31], s[0:1]
.LBB2_401:                              ;   in Loop: Header=BB2_90 Depth=1
	s_mov_b32 s0, 0
.LBB2_402:                              ;   in Loop: Header=BB2_90 Depth=1
	s_delay_alu instid0(SALU_CYCLE_1)
	s_and_b32 vcc_lo, exec_lo, s0
	s_cbranch_vccz .LBB2_407
; %bb.403:                              ;   in Loop: Header=BB2_90 Depth=1
	s_cmp_lg_u32 s101, 49
	s_mov_b32 s0, -1
	s_cbranch_scc0 .LBB2_405
; %bb.404:                              ;   in Loop: Header=BB2_90 Depth=1
	v_mov_b32_e32 v31, v40
	s_get_pc_i64 s[0:1]
	s_add_nc_u64 s[0:1], s[0:1], _Z45ncclDevFunc_AllGather_PAT_SIMPLE_Sum_i8_0_0_4v@rel64+4
	s_mov_b64 s[4:5], s[48:49]
	s_mov_b64 s[6:7], s[38:39]
	;; [unrolled: 1-line block ×4, first 2 shown]
	s_swap_pc_i64 s[30:31], s[0:1]
	s_mov_b32 s0, 0
.LBB2_405:                              ;   in Loop: Header=BB2_90 Depth=1
	s_delay_alu instid0(SALU_CYCLE_1)
	s_and_not1_b32 vcc_lo, exec_lo, s0
	s_cbranch_vccnz .LBB2_407
; %bb.406:                              ;   in Loop: Header=BB2_90 Depth=1
	v_mov_b32_e32 v31, v40
	s_get_pc_i64 s[0:1]
	s_add_nc_u64 s[0:1], s[0:1], _Z41ncclDevFunc_AllGather_PAT_LL_Sum_i8_0_0_4v@rel64+4
	s_mov_b64 s[4:5], s[48:49]
	s_mov_b64 s[6:7], s[38:39]
	;; [unrolled: 1-line block ×4, first 2 shown]
	s_swap_pc_i64 s[30:31], s[0:1]
.LBB2_407:                              ;   in Loop: Header=BB2_90 Depth=1
	s_mov_b32 s0, 0
.LBB2_408:                              ;   in Loop: Header=BB2_90 Depth=1
	s_delay_alu instid0(SALU_CYCLE_1)
	s_and_not1_b32 vcc_lo, exec_lo, s0
	s_cbranch_vccnz .LBB2_420
; %bb.409:                              ;   in Loop: Header=BB2_90 Depth=1
	s_cmp_gt_u32 s101, 45
	s_mov_b32 s0, -1
	s_cbranch_scc0 .LBB2_415
; %bb.410:                              ;   in Loop: Header=BB2_90 Depth=1
	s_cmp_lg_u32 s101, 46
	s_cbranch_scc0 .LBB2_412
; %bb.411:                              ;   in Loop: Header=BB2_90 Depth=1
	v_mov_b32_e32 v31, v40
	s_get_pc_i64 s[0:1]
	s_add_nc_u64 s[0:1], s[0:1], _Z46ncclDevFunc_AllGather_RING_SIMPLE_Sum_i8_0_0_4v@rel64+4
	s_mov_b64 s[4:5], s[48:49]
	s_mov_b64 s[6:7], s[38:39]
	;; [unrolled: 1-line block ×4, first 2 shown]
	s_swap_pc_i64 s[30:31], s[0:1]
	s_mov_b32 s0, 0
.LBB2_412:                              ;   in Loop: Header=BB2_90 Depth=1
	s_delay_alu instid0(SALU_CYCLE_1)
	s_and_not1_b32 vcc_lo, exec_lo, s0
	s_cbranch_vccnz .LBB2_414
; %bb.413:                              ;   in Loop: Header=BB2_90 Depth=1
	v_mov_b32_e32 v31, v40
	s_get_pc_i64 s[0:1]
	s_add_nc_u64 s[0:1], s[0:1], _Z42ncclDevFunc_AllGather_RING_LL_Sum_i8_0_0_4v@rel64+4
	s_mov_b64 s[4:5], s[48:49]
	s_mov_b64 s[6:7], s[38:39]
	;; [unrolled: 1-line block ×4, first 2 shown]
	s_swap_pc_i64 s[30:31], s[0:1]
.LBB2_414:                              ;   in Loop: Header=BB2_90 Depth=1
	s_mov_b32 s0, 0
.LBB2_415:                              ;   in Loop: Header=BB2_90 Depth=1
	s_delay_alu instid0(SALU_CYCLE_1)
	s_and_not1_b32 vcc_lo, exec_lo, s0
	s_cbranch_vccnz .LBB2_420
; %bb.416:                              ;   in Loop: Header=BB2_90 Depth=1
	s_cmp_eq_u32 s101, 45
	s_mov_b32 s0, -1
	s_cbranch_scc1 .LBB2_418
; %bb.417:                              ;   in Loop: Header=BB2_90 Depth=1
	v_mov_b32_e32 v31, v40
	s_get_pc_i64 s[0:1]
	s_add_nc_u64 s[0:1], s[0:1], _Z51ncclDevFunc_Reduce_RING_SIMPLE_SumPostDiv_u32_0_0_4v@rel64+4
	s_mov_b64 s[4:5], s[48:49]
	s_mov_b64 s[6:7], s[38:39]
	s_mov_b64 s[8:9], s[50:51]
	s_mov_b64 s[10:11], s[34:35]
	s_swap_pc_i64 s[30:31], s[0:1]
	s_mov_b32 s0, 0
.LBB2_418:                              ;   in Loop: Header=BB2_90 Depth=1
	s_delay_alu instid0(SALU_CYCLE_1)
	s_and_not1_b32 vcc_lo, exec_lo, s0
	s_cbranch_vccnz .LBB2_420
; %bb.419:                              ;   in Loop: Header=BB2_90 Depth=1
	v_mov_b32_e32 v31, v40
	s_get_pc_i64 s[0:1]
	s_add_nc_u64 s[0:1], s[0:1], _Z51ncclDevFunc_Reduce_RING_SIMPLE_SumPostDiv_u64_0_0_4v@rel64+4
	s_mov_b64 s[4:5], s[48:49]
	s_mov_b64 s[6:7], s[38:39]
	;; [unrolled: 1-line block ×4, first 2 shown]
	s_swap_pc_i64 s[30:31], s[0:1]
.LBB2_420:                              ;   in Loop: Header=BB2_90 Depth=1
	s_mov_b32 s0, 0
.LBB2_421:                              ;   in Loop: Header=BB2_90 Depth=1
	s_delay_alu instid0(SALU_CYCLE_1)
	s_and_not1_b32 vcc_lo, exec_lo, s0
	s_cbranch_vccnz .LBB2_576
; %bb.422:                              ;   in Loop: Header=BB2_90 Depth=1
	s_cmp_gt_u32 s101, 21
	s_mov_b32 s0, -1
	s_cbranch_scc0 .LBB2_501
; %bb.423:                              ;   in Loop: Header=BB2_90 Depth=1
	s_cmp_gt_u32 s101, 32
	s_cbranch_scc0 .LBB2_462
; %bb.424:                              ;   in Loop: Header=BB2_90 Depth=1
	s_cmp_gt_u32 s101, 37
	s_cbranch_scc0 .LBB2_445
; %bb.425:                              ;   in Loop: Header=BB2_90 Depth=1
	s_cmp_gt_u32 s101, 40
	s_cbranch_scc0 .LBB2_435
; %bb.426:                              ;   in Loop: Header=BB2_90 Depth=1
	s_sext_i32_i16 s0, s100
	s_delay_alu instid0(SALU_CYCLE_1)
	s_cmp_lt_i32 s0, 42
	s_mov_b32 s0, -1
	s_cbranch_scc1 .LBB2_432
; %bb.427:                              ;   in Loop: Header=BB2_90 Depth=1
	s_cmp_lg_u32 s101, 42
	s_cbranch_scc0 .LBB2_429
; %bb.428:                              ;   in Loop: Header=BB2_90 Depth=1
	v_mov_b32_e32 v31, v40
	s_get_pc_i64 s[0:1]
	s_add_nc_u64 s[0:1], s[0:1], _Z50ncclDevFunc_Reduce_RING_SIMPLE_SumPostDiv_u8_0_0_4v@rel64+4
	s_mov_b64 s[4:5], s[48:49]
	s_mov_b64 s[6:7], s[38:39]
	;; [unrolled: 1-line block ×4, first 2 shown]
	s_swap_pc_i64 s[30:31], s[0:1]
	s_mov_b32 s0, 0
.LBB2_429:                              ;   in Loop: Header=BB2_90 Depth=1
	s_delay_alu instid0(SALU_CYCLE_1)
	s_and_not1_b32 vcc_lo, exec_lo, s0
	s_cbranch_vccnz .LBB2_431
; %bb.430:                              ;   in Loop: Header=BB2_90 Depth=1
	v_mov_b32_e32 v31, v40
	s_get_pc_i64 s[0:1]
	s_add_nc_u64 s[0:1], s[0:1], _Z53ncclDevFunc_Reduce_RING_SIMPLE_PreMulSum_f8e5m2_0_0_4v@rel64+4
	s_mov_b64 s[4:5], s[48:49]
	s_mov_b64 s[6:7], s[38:39]
	;; [unrolled: 1-line block ×4, first 2 shown]
	s_swap_pc_i64 s[30:31], s[0:1]
.LBB2_431:                              ;   in Loop: Header=BB2_90 Depth=1
	s_mov_b32 s0, 0
.LBB2_432:                              ;   in Loop: Header=BB2_90 Depth=1
	s_delay_alu instid0(SALU_CYCLE_1)
	s_and_not1_b32 vcc_lo, exec_lo, s0
	s_cbranch_vccnz .LBB2_434
; %bb.433:                              ;   in Loop: Header=BB2_90 Depth=1
	v_mov_b32_e32 v31, v40
	s_get_pc_i64 s[0:1]
	s_add_nc_u64 s[0:1], s[0:1], _Z53ncclDevFunc_Reduce_RING_SIMPLE_PreMulSum_f8e4m3_0_0_4v@rel64+4
	s_mov_b64 s[4:5], s[48:49]
	s_mov_b64 s[6:7], s[38:39]
	;; [unrolled: 1-line block ×4, first 2 shown]
	s_swap_pc_i64 s[30:31], s[0:1]
.LBB2_434:                              ;   in Loop: Header=BB2_90 Depth=1
	s_mov_b32 s0, 0
.LBB2_435:                              ;   in Loop: Header=BB2_90 Depth=1
	s_delay_alu instid0(SALU_CYCLE_1)
	s_and_b32 vcc_lo, exec_lo, s0
	s_cbranch_vccz .LBB2_444
; %bb.436:                              ;   in Loop: Header=BB2_90 Depth=1
	s_sext_i32_i16 s0, s100
	s_delay_alu instid0(SALU_CYCLE_1)
	s_cmp_lt_i32 s0, 39
	s_mov_b32 s0, -1
	s_cbranch_scc1 .LBB2_442
; %bb.437:                              ;   in Loop: Header=BB2_90 Depth=1
	s_cmp_lg_u32 s101, 39
	s_cbranch_scc0 .LBB2_439
; %bb.438:                              ;   in Loop: Header=BB2_90 Depth=1
	v_mov_b32_e32 v31, v40
	s_get_pc_i64 s[0:1]
	s_add_nc_u64 s[0:1], s[0:1], _Z51ncclDevFunc_Reduce_RING_SIMPLE_PreMulSum_bf16_0_1_4v@rel64+4
	s_mov_b64 s[4:5], s[48:49]
	s_mov_b64 s[6:7], s[38:39]
	;; [unrolled: 1-line block ×4, first 2 shown]
	s_swap_pc_i64 s[30:31], s[0:1]
	s_mov_b32 s0, 0
.LBB2_439:                              ;   in Loop: Header=BB2_90 Depth=1
	s_delay_alu instid0(SALU_CYCLE_1)
	s_and_not1_b32 vcc_lo, exec_lo, s0
	s_cbranch_vccnz .LBB2_441
; %bb.440:                              ;   in Loop: Header=BB2_90 Depth=1
	v_mov_b32_e32 v31, v40
	s_get_pc_i64 s[0:1]
	s_add_nc_u64 s[0:1], s[0:1], _Z51ncclDevFunc_Reduce_RING_SIMPLE_PreMulSum_bf16_0_0_4v@rel64+4
	s_mov_b64 s[4:5], s[48:49]
	s_mov_b64 s[6:7], s[38:39]
	;; [unrolled: 1-line block ×4, first 2 shown]
	s_swap_pc_i64 s[30:31], s[0:1]
.LBB2_441:                              ;   in Loop: Header=BB2_90 Depth=1
	s_mov_b32 s0, 0
.LBB2_442:                              ;   in Loop: Header=BB2_90 Depth=1
	s_delay_alu instid0(SALU_CYCLE_1)
	s_and_not1_b32 vcc_lo, exec_lo, s0
	s_cbranch_vccnz .LBB2_444
; %bb.443:                              ;   in Loop: Header=BB2_90 Depth=1
	v_mov_b32_e32 v31, v40
	s_get_pc_i64 s[0:1]
	s_add_nc_u64 s[0:1], s[0:1], _Z50ncclDevFunc_Reduce_RING_SIMPLE_PreMulSum_f64_0_0_4v@rel64+4
	s_mov_b64 s[4:5], s[48:49]
	s_mov_b64 s[6:7], s[38:39]
	;; [unrolled: 1-line block ×4, first 2 shown]
	s_swap_pc_i64 s[30:31], s[0:1]
.LBB2_444:                              ;   in Loop: Header=BB2_90 Depth=1
	s_mov_b32 s0, 0
.LBB2_445:                              ;   in Loop: Header=BB2_90 Depth=1
	s_delay_alu instid0(SALU_CYCLE_1)
	s_and_not1_b32 vcc_lo, exec_lo, s0
	s_cbranch_vccnz .LBB2_461
; %bb.446:                              ;   in Loop: Header=BB2_90 Depth=1
	s_cmp_gt_u32 s101, 34
	s_mov_b32 s0, -1
	s_cbranch_scc0 .LBB2_456
; %bb.447:                              ;   in Loop: Header=BB2_90 Depth=1
	s_sext_i32_i16 s0, s100
	s_delay_alu instid0(SALU_CYCLE_1)
	s_cmp_lt_i32 s0, 36
	s_mov_b32 s0, -1
	s_cbranch_scc1 .LBB2_453
; %bb.448:                              ;   in Loop: Header=BB2_90 Depth=1
	s_cmp_lg_u32 s101, 36
	s_cbranch_scc0 .LBB2_450
; %bb.449:                              ;   in Loop: Header=BB2_90 Depth=1
	v_mov_b32_e32 v31, v40
	s_get_pc_i64 s[0:1]
	s_add_nc_u64 s[0:1], s[0:1], _Z50ncclDevFunc_Reduce_RING_SIMPLE_PreMulSum_f32_0_0_4v@rel64+4
	s_mov_b64 s[4:5], s[48:49]
	s_mov_b64 s[6:7], s[38:39]
	;; [unrolled: 1-line block ×4, first 2 shown]
	s_swap_pc_i64 s[30:31], s[0:1]
	s_mov_b32 s0, 0
.LBB2_450:                              ;   in Loop: Header=BB2_90 Depth=1
	s_delay_alu instid0(SALU_CYCLE_1)
	s_and_not1_b32 vcc_lo, exec_lo, s0
	s_cbranch_vccnz .LBB2_452
; %bb.451:                              ;   in Loop: Header=BB2_90 Depth=1
	v_mov_b32_e32 v31, v40
	s_get_pc_i64 s[0:1]
	s_add_nc_u64 s[0:1], s[0:1], _Z50ncclDevFunc_Reduce_RING_SIMPLE_PreMulSum_f16_0_0_4v@rel64+4
	s_mov_b64 s[4:5], s[48:49]
	s_mov_b64 s[6:7], s[38:39]
	;; [unrolled: 1-line block ×4, first 2 shown]
	s_swap_pc_i64 s[30:31], s[0:1]
.LBB2_452:                              ;   in Loop: Header=BB2_90 Depth=1
	s_mov_b32 s0, 0
.LBB2_453:                              ;   in Loop: Header=BB2_90 Depth=1
	s_delay_alu instid0(SALU_CYCLE_1)
	s_and_not1_b32 vcc_lo, exec_lo, s0
	s_cbranch_vccnz .LBB2_455
; %bb.454:                              ;   in Loop: Header=BB2_90 Depth=1
	v_mov_b32_e32 v31, v40
	s_get_pc_i64 s[0:1]
	s_add_nc_u64 s[0:1], s[0:1], _Z50ncclDevFunc_Reduce_RING_SIMPLE_PreMulSum_u64_0_0_4v@rel64+4
	s_mov_b64 s[4:5], s[48:49]
	s_mov_b64 s[6:7], s[38:39]
	;; [unrolled: 1-line block ×4, first 2 shown]
	s_swap_pc_i64 s[30:31], s[0:1]
.LBB2_455:                              ;   in Loop: Header=BB2_90 Depth=1
	s_mov_b32 s0, 0
.LBB2_456:                              ;   in Loop: Header=BB2_90 Depth=1
	s_delay_alu instid0(SALU_CYCLE_1)
	s_and_b32 vcc_lo, exec_lo, s0
	s_cbranch_vccz .LBB2_461
; %bb.457:                              ;   in Loop: Header=BB2_90 Depth=1
	s_cmp_eq_u32 s101, 34
	s_mov_b32 s0, -1
	s_cbranch_scc1 .LBB2_459
; %bb.458:                              ;   in Loop: Header=BB2_90 Depth=1
	v_mov_b32_e32 v31, v40
	s_get_pc_i64 s[0:1]
	s_add_nc_u64 s[0:1], s[0:1], _Z49ncclDevFunc_Reduce_RING_SIMPLE_PreMulSum_u8_0_0_4v@rel64+4
	s_mov_b64 s[4:5], s[48:49]
	s_mov_b64 s[6:7], s[38:39]
	s_mov_b64 s[8:9], s[50:51]
	s_mov_b64 s[10:11], s[34:35]
	s_swap_pc_i64 s[30:31], s[0:1]
	s_mov_b32 s0, 0
.LBB2_459:                              ;   in Loop: Header=BB2_90 Depth=1
	s_delay_alu instid0(SALU_CYCLE_1)
	s_and_not1_b32 vcc_lo, exec_lo, s0
	s_cbranch_vccnz .LBB2_461
; %bb.460:                              ;   in Loop: Header=BB2_90 Depth=1
	v_mov_b32_e32 v31, v40
	s_get_pc_i64 s[0:1]
	s_add_nc_u64 s[0:1], s[0:1], _Z50ncclDevFunc_Reduce_RING_SIMPLE_PreMulSum_u32_0_0_4v@rel64+4
	s_mov_b64 s[4:5], s[48:49]
	s_mov_b64 s[6:7], s[38:39]
	;; [unrolled: 1-line block ×4, first 2 shown]
	s_swap_pc_i64 s[30:31], s[0:1]
.LBB2_461:                              ;   in Loop: Header=BB2_90 Depth=1
	s_mov_b32 s0, 0
.LBB2_462:                              ;   in Loop: Header=BB2_90 Depth=1
	s_delay_alu instid0(SALU_CYCLE_1)
	s_and_not1_b32 vcc_lo, exec_lo, s0
	s_cbranch_vccnz .LBB2_500
; %bb.463:                              ;   in Loop: Header=BB2_90 Depth=1
	s_cmp_gt_u32 s101, 26
	s_mov_b32 s0, -1
	s_cbranch_scc0 .LBB2_484
; %bb.464:                              ;   in Loop: Header=BB2_90 Depth=1
	s_cmp_gt_u32 s101, 29
	s_cbranch_scc0 .LBB2_474
; %bb.465:                              ;   in Loop: Header=BB2_90 Depth=1
	s_sext_i32_i16 s0, s100
	s_delay_alu instid0(SALU_CYCLE_1)
	s_cmp_lt_i32 s0, 31
	s_mov_b32 s0, -1
	s_cbranch_scc1 .LBB2_471
; %bb.466:                              ;   in Loop: Header=BB2_90 Depth=1
	s_cmp_lg_u32 s101, 31
	s_cbranch_scc0 .LBB2_468
; %bb.467:                              ;   in Loop: Header=BB2_90 Depth=1
	v_mov_b32_e32 v31, v40
	s_get_pc_i64 s[0:1]
	s_add_nc_u64 s[0:1], s[0:1], _Z50ncclDevFunc_Reduce_RING_SIMPLE_MinMax_f8e5m2_0_0_4v@rel64+4
	s_mov_b64 s[4:5], s[48:49]
	s_mov_b64 s[6:7], s[38:39]
	;; [unrolled: 1-line block ×4, first 2 shown]
	s_swap_pc_i64 s[30:31], s[0:1]
	s_mov_b32 s0, 0
.LBB2_468:                              ;   in Loop: Header=BB2_90 Depth=1
	s_delay_alu instid0(SALU_CYCLE_1)
	s_and_not1_b32 vcc_lo, exec_lo, s0
	s_cbranch_vccnz .LBB2_470
; %bb.469:                              ;   in Loop: Header=BB2_90 Depth=1
	v_mov_b32_e32 v31, v40
	s_get_pc_i64 s[0:1]
	s_add_nc_u64 s[0:1], s[0:1], _Z50ncclDevFunc_Reduce_RING_SIMPLE_MinMax_f8e4m3_0_0_4v@rel64+4
	s_mov_b64 s[4:5], s[48:49]
	s_mov_b64 s[6:7], s[38:39]
	;; [unrolled: 1-line block ×4, first 2 shown]
	s_swap_pc_i64 s[30:31], s[0:1]
.LBB2_470:                              ;   in Loop: Header=BB2_90 Depth=1
	s_mov_b32 s0, 0
.LBB2_471:                              ;   in Loop: Header=BB2_90 Depth=1
	s_delay_alu instid0(SALU_CYCLE_1)
	s_and_not1_b32 vcc_lo, exec_lo, s0
	s_cbranch_vccnz .LBB2_473
; %bb.472:                              ;   in Loop: Header=BB2_90 Depth=1
	v_mov_b32_e32 v31, v40
	s_get_pc_i64 s[0:1]
	s_add_nc_u64 s[0:1], s[0:1], _Z48ncclDevFunc_Reduce_RING_SIMPLE_MinMax_bf16_0_1_4v@rel64+4
	s_mov_b64 s[4:5], s[48:49]
	s_mov_b64 s[6:7], s[38:39]
	;; [unrolled: 1-line block ×4, first 2 shown]
	s_swap_pc_i64 s[30:31], s[0:1]
.LBB2_473:                              ;   in Loop: Header=BB2_90 Depth=1
	s_mov_b32 s0, 0
.LBB2_474:                              ;   in Loop: Header=BB2_90 Depth=1
	s_delay_alu instid0(SALU_CYCLE_1)
	s_and_b32 vcc_lo, exec_lo, s0
	s_cbranch_vccz .LBB2_483
; %bb.475:                              ;   in Loop: Header=BB2_90 Depth=1
	s_sext_i32_i16 s0, s100
	s_delay_alu instid0(SALU_CYCLE_1)
	s_cmp_lt_i32 s0, 28
	s_mov_b32 s0, -1
	s_cbranch_scc1 .LBB2_481
; %bb.476:                              ;   in Loop: Header=BB2_90 Depth=1
	s_cmp_lg_u32 s101, 28
	s_cbranch_scc0 .LBB2_478
; %bb.477:                              ;   in Loop: Header=BB2_90 Depth=1
	v_mov_b32_e32 v31, v40
	s_get_pc_i64 s[0:1]
	s_add_nc_u64 s[0:1], s[0:1], _Z48ncclDevFunc_Reduce_RING_SIMPLE_MinMax_bf16_0_0_4v@rel64+4
	s_mov_b64 s[4:5], s[48:49]
	s_mov_b64 s[6:7], s[38:39]
	;; [unrolled: 1-line block ×4, first 2 shown]
	s_swap_pc_i64 s[30:31], s[0:1]
	s_mov_b32 s0, 0
.LBB2_478:                              ;   in Loop: Header=BB2_90 Depth=1
	s_delay_alu instid0(SALU_CYCLE_1)
	s_and_not1_b32 vcc_lo, exec_lo, s0
	s_cbranch_vccnz .LBB2_480
; %bb.479:                              ;   in Loop: Header=BB2_90 Depth=1
	v_mov_b32_e32 v31, v40
	s_get_pc_i64 s[0:1]
	s_add_nc_u64 s[0:1], s[0:1], _Z47ncclDevFunc_Reduce_RING_SIMPLE_MinMax_f64_0_0_4v@rel64+4
	s_mov_b64 s[4:5], s[48:49]
	s_mov_b64 s[6:7], s[38:39]
	;; [unrolled: 1-line block ×4, first 2 shown]
	s_swap_pc_i64 s[30:31], s[0:1]
.LBB2_480:                              ;   in Loop: Header=BB2_90 Depth=1
	s_mov_b32 s0, 0
.LBB2_481:                              ;   in Loop: Header=BB2_90 Depth=1
	s_delay_alu instid0(SALU_CYCLE_1)
	s_and_not1_b32 vcc_lo, exec_lo, s0
	s_cbranch_vccnz .LBB2_483
; %bb.482:                              ;   in Loop: Header=BB2_90 Depth=1
	v_mov_b32_e32 v31, v40
	s_get_pc_i64 s[0:1]
	s_add_nc_u64 s[0:1], s[0:1], _Z47ncclDevFunc_Reduce_RING_SIMPLE_MinMax_f32_0_0_4v@rel64+4
	s_mov_b64 s[4:5], s[48:49]
	s_mov_b64 s[6:7], s[38:39]
	;; [unrolled: 1-line block ×4, first 2 shown]
	s_swap_pc_i64 s[30:31], s[0:1]
.LBB2_483:                              ;   in Loop: Header=BB2_90 Depth=1
	s_mov_b32 s0, 0
.LBB2_484:                              ;   in Loop: Header=BB2_90 Depth=1
	s_delay_alu instid0(SALU_CYCLE_1)
	s_and_not1_b32 vcc_lo, exec_lo, s0
	s_cbranch_vccnz .LBB2_500
; %bb.485:                              ;   in Loop: Header=BB2_90 Depth=1
	s_cmp_gt_u32 s101, 23
	s_mov_b32 s0, -1
	s_cbranch_scc0 .LBB2_495
; %bb.486:                              ;   in Loop: Header=BB2_90 Depth=1
	s_sext_i32_i16 s0, s100
	s_delay_alu instid0(SALU_CYCLE_1)
	s_cmp_lt_i32 s0, 25
	s_mov_b32 s0, -1
	s_cbranch_scc1 .LBB2_492
; %bb.487:                              ;   in Loop: Header=BB2_90 Depth=1
	s_cmp_lg_u32 s101, 25
	s_cbranch_scc0 .LBB2_489
; %bb.488:                              ;   in Loop: Header=BB2_90 Depth=1
	v_mov_b32_e32 v31, v40
	s_get_pc_i64 s[0:1]
	s_add_nc_u64 s[0:1], s[0:1], _Z47ncclDevFunc_Reduce_RING_SIMPLE_MinMax_f16_0_0_4v@rel64+4
	s_mov_b64 s[4:5], s[48:49]
	s_mov_b64 s[6:7], s[38:39]
	;; [unrolled: 1-line block ×4, first 2 shown]
	s_swap_pc_i64 s[30:31], s[0:1]
	s_mov_b32 s0, 0
.LBB2_489:                              ;   in Loop: Header=BB2_90 Depth=1
	s_delay_alu instid0(SALU_CYCLE_1)
	s_and_not1_b32 vcc_lo, exec_lo, s0
	s_cbranch_vccnz .LBB2_491
; %bb.490:                              ;   in Loop: Header=BB2_90 Depth=1
	v_mov_b32_e32 v31, v40
	s_get_pc_i64 s[0:1]
	s_add_nc_u64 s[0:1], s[0:1], _Z47ncclDevFunc_Reduce_RING_SIMPLE_MinMax_u64_0_0_4v@rel64+4
	s_mov_b64 s[4:5], s[48:49]
	s_mov_b64 s[6:7], s[38:39]
	;; [unrolled: 1-line block ×4, first 2 shown]
	s_swap_pc_i64 s[30:31], s[0:1]
.LBB2_491:                              ;   in Loop: Header=BB2_90 Depth=1
	s_mov_b32 s0, 0
.LBB2_492:                              ;   in Loop: Header=BB2_90 Depth=1
	s_delay_alu instid0(SALU_CYCLE_1)
	s_and_not1_b32 vcc_lo, exec_lo, s0
	s_cbranch_vccnz .LBB2_494
; %bb.493:                              ;   in Loop: Header=BB2_90 Depth=1
	v_mov_b32_e32 v31, v40
	s_get_pc_i64 s[0:1]
	s_add_nc_u64 s[0:1], s[0:1], _Z47ncclDevFunc_Reduce_RING_SIMPLE_MinMax_u32_0_0_4v@rel64+4
	s_mov_b64 s[4:5], s[48:49]
	s_mov_b64 s[6:7], s[38:39]
	;; [unrolled: 1-line block ×4, first 2 shown]
	s_swap_pc_i64 s[30:31], s[0:1]
.LBB2_494:                              ;   in Loop: Header=BB2_90 Depth=1
	s_mov_b32 s0, 0
.LBB2_495:                              ;   in Loop: Header=BB2_90 Depth=1
	s_delay_alu instid0(SALU_CYCLE_1)
	s_and_b32 vcc_lo, exec_lo, s0
	s_cbranch_vccz .LBB2_500
; %bb.496:                              ;   in Loop: Header=BB2_90 Depth=1
	s_cmp_eq_u32 s101, 23
	s_mov_b32 s0, -1
	s_cbranch_scc1 .LBB2_498
; %bb.497:                              ;   in Loop: Header=BB2_90 Depth=1
	v_mov_b32_e32 v31, v40
	s_get_pc_i64 s[0:1]
	s_add_nc_u64 s[0:1], s[0:1], _Z48ncclDevFunc_Reduce_RING_SIMPLE_Prod_f8e5m2_0_0_4v@rel64+4
	s_mov_b64 s[4:5], s[48:49]
	s_mov_b64 s[6:7], s[38:39]
	s_mov_b64 s[8:9], s[50:51]
	s_mov_b64 s[10:11], s[34:35]
	s_swap_pc_i64 s[30:31], s[0:1]
	s_mov_b32 s0, 0
.LBB2_498:                              ;   in Loop: Header=BB2_90 Depth=1
	s_delay_alu instid0(SALU_CYCLE_1)
	s_and_not1_b32 vcc_lo, exec_lo, s0
	s_cbranch_vccnz .LBB2_500
; %bb.499:                              ;   in Loop: Header=BB2_90 Depth=1
	v_mov_b32_e32 v31, v40
	s_get_pc_i64 s[0:1]
	s_add_nc_u64 s[0:1], s[0:1], _Z46ncclDevFunc_Reduce_RING_SIMPLE_MinMax_u8_0_0_4v@rel64+4
	s_mov_b64 s[4:5], s[48:49]
	s_mov_b64 s[6:7], s[38:39]
	;; [unrolled: 1-line block ×4, first 2 shown]
	s_swap_pc_i64 s[30:31], s[0:1]
.LBB2_500:                              ;   in Loop: Header=BB2_90 Depth=1
	s_mov_b32 s0, 0
.LBB2_501:                              ;   in Loop: Header=BB2_90 Depth=1
	s_delay_alu instid0(SALU_CYCLE_1)
	s_and_not1_b32 vcc_lo, exec_lo, s0
	s_cbranch_vccnz .LBB2_576
; %bb.502:                              ;   in Loop: Header=BB2_90 Depth=1
	s_cmp_gt_u32 s101, 10
	s_mov_b32 s0, -1
	s_cbranch_scc0 .LBB2_541
; %bb.503:                              ;   in Loop: Header=BB2_90 Depth=1
	s_cmp_gt_u32 s101, 15
	s_cbranch_scc0 .LBB2_524
; %bb.504:                              ;   in Loop: Header=BB2_90 Depth=1
	s_cmp_gt_u32 s101, 18
	s_cbranch_scc0 .LBB2_514
; %bb.505:                              ;   in Loop: Header=BB2_90 Depth=1
	s_sext_i32_i16 s0, s100
	s_delay_alu instid0(SALU_CYCLE_1)
	s_cmp_lt_i32 s0, 20
	s_mov_b32 s0, -1
	s_cbranch_scc1 .LBB2_511
; %bb.506:                              ;   in Loop: Header=BB2_90 Depth=1
	s_cmp_lg_u32 s101, 20
	s_cbranch_scc0 .LBB2_508
; %bb.507:                              ;   in Loop: Header=BB2_90 Depth=1
	v_mov_b32_e32 v31, v40
	s_get_pc_i64 s[0:1]
	s_add_nc_u64 s[0:1], s[0:1], _Z48ncclDevFunc_Reduce_RING_SIMPLE_Prod_f8e4m3_0_0_4v@rel64+4
	s_mov_b64 s[4:5], s[48:49]
	s_mov_b64 s[6:7], s[38:39]
	;; [unrolled: 1-line block ×4, first 2 shown]
	s_swap_pc_i64 s[30:31], s[0:1]
	s_mov_b32 s0, 0
.LBB2_508:                              ;   in Loop: Header=BB2_90 Depth=1
	s_delay_alu instid0(SALU_CYCLE_1)
	s_and_not1_b32 vcc_lo, exec_lo, s0
	s_cbranch_vccnz .LBB2_510
; %bb.509:                              ;   in Loop: Header=BB2_90 Depth=1
	v_mov_b32_e32 v31, v40
	s_get_pc_i64 s[0:1]
	s_add_nc_u64 s[0:1], s[0:1], _Z46ncclDevFunc_Reduce_RING_SIMPLE_Prod_bf16_0_1_4v@rel64+4
	s_mov_b64 s[4:5], s[48:49]
	s_mov_b64 s[6:7], s[38:39]
	;; [unrolled: 1-line block ×4, first 2 shown]
	s_swap_pc_i64 s[30:31], s[0:1]
.LBB2_510:                              ;   in Loop: Header=BB2_90 Depth=1
	s_mov_b32 s0, 0
.LBB2_511:                              ;   in Loop: Header=BB2_90 Depth=1
	s_delay_alu instid0(SALU_CYCLE_1)
	s_and_not1_b32 vcc_lo, exec_lo, s0
	s_cbranch_vccnz .LBB2_513
; %bb.512:                              ;   in Loop: Header=BB2_90 Depth=1
	v_mov_b32_e32 v31, v40
	s_get_pc_i64 s[0:1]
	s_add_nc_u64 s[0:1], s[0:1], _Z46ncclDevFunc_Reduce_RING_SIMPLE_Prod_bf16_0_0_4v@rel64+4
	s_mov_b64 s[4:5], s[48:49]
	s_mov_b64 s[6:7], s[38:39]
	;; [unrolled: 1-line block ×4, first 2 shown]
	s_swap_pc_i64 s[30:31], s[0:1]
.LBB2_513:                              ;   in Loop: Header=BB2_90 Depth=1
	s_mov_b32 s0, 0
.LBB2_514:                              ;   in Loop: Header=BB2_90 Depth=1
	s_delay_alu instid0(SALU_CYCLE_1)
	s_and_b32 vcc_lo, exec_lo, s0
	s_cbranch_vccz .LBB2_523
; %bb.515:                              ;   in Loop: Header=BB2_90 Depth=1
	s_sext_i32_i16 s0, s100
	s_delay_alu instid0(SALU_CYCLE_1)
	s_cmp_lt_i32 s0, 17
	s_mov_b32 s0, -1
	s_cbranch_scc1 .LBB2_521
; %bb.516:                              ;   in Loop: Header=BB2_90 Depth=1
	s_cmp_lg_u32 s101, 17
	s_cbranch_scc0 .LBB2_518
; %bb.517:                              ;   in Loop: Header=BB2_90 Depth=1
	v_mov_b32_e32 v31, v40
	s_get_pc_i64 s[0:1]
	s_add_nc_u64 s[0:1], s[0:1], _Z45ncclDevFunc_Reduce_RING_SIMPLE_Prod_f64_0_0_4v@rel64+4
	s_mov_b64 s[4:5], s[48:49]
	s_mov_b64 s[6:7], s[38:39]
	;; [unrolled: 1-line block ×4, first 2 shown]
	s_swap_pc_i64 s[30:31], s[0:1]
	s_mov_b32 s0, 0
.LBB2_518:                              ;   in Loop: Header=BB2_90 Depth=1
	s_delay_alu instid0(SALU_CYCLE_1)
	s_and_not1_b32 vcc_lo, exec_lo, s0
	s_cbranch_vccnz .LBB2_520
; %bb.519:                              ;   in Loop: Header=BB2_90 Depth=1
	v_mov_b32_e32 v31, v40
	s_get_pc_i64 s[0:1]
	s_add_nc_u64 s[0:1], s[0:1], _Z45ncclDevFunc_Reduce_RING_SIMPLE_Prod_f32_0_0_4v@rel64+4
	s_mov_b64 s[4:5], s[48:49]
	s_mov_b64 s[6:7], s[38:39]
	;; [unrolled: 1-line block ×4, first 2 shown]
	s_swap_pc_i64 s[30:31], s[0:1]
.LBB2_520:                              ;   in Loop: Header=BB2_90 Depth=1
	s_mov_b32 s0, 0
.LBB2_521:                              ;   in Loop: Header=BB2_90 Depth=1
	s_delay_alu instid0(SALU_CYCLE_1)
	s_and_not1_b32 vcc_lo, exec_lo, s0
	s_cbranch_vccnz .LBB2_523
; %bb.522:                              ;   in Loop: Header=BB2_90 Depth=1
	v_mov_b32_e32 v31, v40
	s_get_pc_i64 s[0:1]
	s_add_nc_u64 s[0:1], s[0:1], _Z45ncclDevFunc_Reduce_RING_SIMPLE_Prod_f16_0_0_4v@rel64+4
	s_mov_b64 s[4:5], s[48:49]
	s_mov_b64 s[6:7], s[38:39]
	;; [unrolled: 1-line block ×4, first 2 shown]
	s_swap_pc_i64 s[30:31], s[0:1]
.LBB2_523:                              ;   in Loop: Header=BB2_90 Depth=1
	s_mov_b32 s0, 0
.LBB2_524:                              ;   in Loop: Header=BB2_90 Depth=1
	s_delay_alu instid0(SALU_CYCLE_1)
	s_and_not1_b32 vcc_lo, exec_lo, s0
	s_cbranch_vccnz .LBB2_540
; %bb.525:                              ;   in Loop: Header=BB2_90 Depth=1
	s_cmp_gt_u32 s101, 12
	s_mov_b32 s0, -1
	s_cbranch_scc0 .LBB2_535
; %bb.526:                              ;   in Loop: Header=BB2_90 Depth=1
	s_sext_i32_i16 s0, s100
	s_delay_alu instid0(SALU_CYCLE_1)
	s_cmp_lt_i32 s0, 14
	s_mov_b32 s0, -1
	s_cbranch_scc1 .LBB2_532
; %bb.527:                              ;   in Loop: Header=BB2_90 Depth=1
	s_cmp_lg_u32 s101, 14
	s_cbranch_scc0 .LBB2_529
; %bb.528:                              ;   in Loop: Header=BB2_90 Depth=1
	v_mov_b32_e32 v31, v40
	s_get_pc_i64 s[0:1]
	s_add_nc_u64 s[0:1], s[0:1], _Z45ncclDevFunc_Reduce_RING_SIMPLE_Prod_u64_0_0_4v@rel64+4
	s_mov_b64 s[4:5], s[48:49]
	s_mov_b64 s[6:7], s[38:39]
	;; [unrolled: 1-line block ×4, first 2 shown]
	s_swap_pc_i64 s[30:31], s[0:1]
	s_mov_b32 s0, 0
.LBB2_529:                              ;   in Loop: Header=BB2_90 Depth=1
	s_delay_alu instid0(SALU_CYCLE_1)
	s_and_not1_b32 vcc_lo, exec_lo, s0
	s_cbranch_vccnz .LBB2_531
; %bb.530:                              ;   in Loop: Header=BB2_90 Depth=1
	v_mov_b32_e32 v31, v40
	s_get_pc_i64 s[0:1]
	s_add_nc_u64 s[0:1], s[0:1], _Z45ncclDevFunc_Reduce_RING_SIMPLE_Prod_u32_0_0_4v@rel64+4
	s_mov_b64 s[4:5], s[48:49]
	s_mov_b64 s[6:7], s[38:39]
	;; [unrolled: 1-line block ×4, first 2 shown]
	s_swap_pc_i64 s[30:31], s[0:1]
.LBB2_531:                              ;   in Loop: Header=BB2_90 Depth=1
	s_mov_b32 s0, 0
.LBB2_532:                              ;   in Loop: Header=BB2_90 Depth=1
	s_delay_alu instid0(SALU_CYCLE_1)
	s_and_not1_b32 vcc_lo, exec_lo, s0
	s_cbranch_vccnz .LBB2_534
; %bb.533:                              ;   in Loop: Header=BB2_90 Depth=1
	v_mov_b32_e32 v31, v40
	s_get_pc_i64 s[0:1]
	s_add_nc_u64 s[0:1], s[0:1], _Z44ncclDevFunc_Reduce_RING_SIMPLE_Prod_u8_0_0_4v@rel64+4
	s_mov_b64 s[4:5], s[48:49]
	s_mov_b64 s[6:7], s[38:39]
	;; [unrolled: 1-line block ×4, first 2 shown]
	s_swap_pc_i64 s[30:31], s[0:1]
.LBB2_534:                              ;   in Loop: Header=BB2_90 Depth=1
	s_mov_b32 s0, 0
.LBB2_535:                              ;   in Loop: Header=BB2_90 Depth=1
	s_delay_alu instid0(SALU_CYCLE_1)
	s_and_b32 vcc_lo, exec_lo, s0
	s_cbranch_vccz .LBB2_540
; %bb.536:                              ;   in Loop: Header=BB2_90 Depth=1
	s_cmp_eq_u32 s101, 12
	s_mov_b32 s0, -1
	s_cbranch_scc1 .LBB2_538
; %bb.537:                              ;   in Loop: Header=BB2_90 Depth=1
	v_mov_b32_e32 v31, v40
	s_get_pc_i64 s[0:1]
	s_add_nc_u64 s[0:1], s[0:1], _Z47ncclDevFunc_Reduce_RING_SIMPLE_Sum_f8e4m3_0_0_4v@rel64+4
	s_mov_b64 s[4:5], s[48:49]
	s_mov_b64 s[6:7], s[38:39]
	s_mov_b64 s[8:9], s[50:51]
	s_mov_b64 s[10:11], s[34:35]
	s_swap_pc_i64 s[30:31], s[0:1]
	s_mov_b32 s0, 0
.LBB2_538:                              ;   in Loop: Header=BB2_90 Depth=1
	s_delay_alu instid0(SALU_CYCLE_1)
	s_and_not1_b32 vcc_lo, exec_lo, s0
	s_cbranch_vccnz .LBB2_540
; %bb.539:                              ;   in Loop: Header=BB2_90 Depth=1
	v_mov_b32_e32 v31, v40
	s_get_pc_i64 s[0:1]
	s_add_nc_u64 s[0:1], s[0:1], _Z47ncclDevFunc_Reduce_RING_SIMPLE_Sum_f8e5m2_0_0_4v@rel64+4
	s_mov_b64 s[4:5], s[48:49]
	s_mov_b64 s[6:7], s[38:39]
	;; [unrolled: 1-line block ×4, first 2 shown]
	s_swap_pc_i64 s[30:31], s[0:1]
.LBB2_540:                              ;   in Loop: Header=BB2_90 Depth=1
	s_mov_b32 s0, 0
.LBB2_541:                              ;   in Loop: Header=BB2_90 Depth=1
	s_delay_alu instid0(SALU_CYCLE_1)
	s_and_not1_b32 vcc_lo, exec_lo, s0
	s_cbranch_vccnz .LBB2_576
; %bb.542:                              ;   in Loop: Header=BB2_90 Depth=1
	s_cmp_gt_u32 s101, 4
	s_mov_b32 s0, -1
	s_cbranch_scc0 .LBB2_563
; %bb.543:                              ;   in Loop: Header=BB2_90 Depth=1
	s_cmp_gt_u32 s101, 7
	s_cbranch_scc0 .LBB2_553
; %bb.544:                              ;   in Loop: Header=BB2_90 Depth=1
	s_sext_i32_i16 s0, s100
	s_delay_alu instid0(SALU_CYCLE_1)
	s_cmp_lt_i32 s0, 9
	s_mov_b32 s0, -1
	s_cbranch_scc1 .LBB2_550
; %bb.545:                              ;   in Loop: Header=BB2_90 Depth=1
	s_cmp_lg_u32 s101, 9
	s_cbranch_scc0 .LBB2_547
; %bb.546:                              ;   in Loop: Header=BB2_90 Depth=1
	v_mov_b32_e32 v31, v40
	s_get_pc_i64 s[0:1]
	s_add_nc_u64 s[0:1], s[0:1], _Z45ncclDevFunc_Reduce_RING_SIMPLE_Sum_bf16_0_1_4v@rel64+4
	s_mov_b64 s[4:5], s[48:49]
	s_mov_b64 s[6:7], s[38:39]
	;; [unrolled: 1-line block ×4, first 2 shown]
	s_swap_pc_i64 s[30:31], s[0:1]
	s_mov_b32 s0, 0
.LBB2_547:                              ;   in Loop: Header=BB2_90 Depth=1
	s_delay_alu instid0(SALU_CYCLE_1)
	s_and_not1_b32 vcc_lo, exec_lo, s0
	s_cbranch_vccnz .LBB2_549
; %bb.548:                              ;   in Loop: Header=BB2_90 Depth=1
	v_mov_b32_e32 v31, v40
	s_get_pc_i64 s[0:1]
	s_add_nc_u64 s[0:1], s[0:1], _Z45ncclDevFunc_Reduce_RING_SIMPLE_Sum_bf16_0_0_4v@rel64+4
	s_mov_b64 s[4:5], s[48:49]
	s_mov_b64 s[6:7], s[38:39]
	;; [unrolled: 1-line block ×4, first 2 shown]
	s_swap_pc_i64 s[30:31], s[0:1]
.LBB2_549:                              ;   in Loop: Header=BB2_90 Depth=1
	s_mov_b32 s0, 0
.LBB2_550:                              ;   in Loop: Header=BB2_90 Depth=1
	s_delay_alu instid0(SALU_CYCLE_1)
	s_and_not1_b32 vcc_lo, exec_lo, s0
	s_cbranch_vccnz .LBB2_552
; %bb.551:                              ;   in Loop: Header=BB2_90 Depth=1
	v_mov_b32_e32 v31, v40
	s_get_pc_i64 s[0:1]
	s_add_nc_u64 s[0:1], s[0:1], _Z44ncclDevFunc_Reduce_RING_SIMPLE_Sum_f64_0_0_4v@rel64+4
	s_mov_b64 s[4:5], s[48:49]
	s_mov_b64 s[6:7], s[38:39]
	;; [unrolled: 1-line block ×4, first 2 shown]
	s_swap_pc_i64 s[30:31], s[0:1]
.LBB2_552:                              ;   in Loop: Header=BB2_90 Depth=1
	s_mov_b32 s0, 0
.LBB2_553:                              ;   in Loop: Header=BB2_90 Depth=1
	s_delay_alu instid0(SALU_CYCLE_1)
	s_and_b32 vcc_lo, exec_lo, s0
	s_cbranch_vccz .LBB2_562
; %bb.554:                              ;   in Loop: Header=BB2_90 Depth=1
	s_sext_i32_i16 s0, s100
	s_delay_alu instid0(SALU_CYCLE_1)
	s_cmp_lt_i32 s0, 6
	s_mov_b32 s0, -1
	s_cbranch_scc1 .LBB2_560
; %bb.555:                              ;   in Loop: Header=BB2_90 Depth=1
	s_cmp_lg_u32 s101, 6
	s_cbranch_scc0 .LBB2_557
; %bb.556:                              ;   in Loop: Header=BB2_90 Depth=1
	v_mov_b32_e32 v31, v40
	s_get_pc_i64 s[0:1]
	s_add_nc_u64 s[0:1], s[0:1], _Z44ncclDevFunc_Reduce_RING_SIMPLE_Sum_f32_0_0_4v@rel64+4
	s_mov_b64 s[4:5], s[48:49]
	s_mov_b64 s[6:7], s[38:39]
	;; [unrolled: 1-line block ×4, first 2 shown]
	s_swap_pc_i64 s[30:31], s[0:1]
	s_mov_b32 s0, 0
.LBB2_557:                              ;   in Loop: Header=BB2_90 Depth=1
	s_delay_alu instid0(SALU_CYCLE_1)
	s_and_not1_b32 vcc_lo, exec_lo, s0
	s_cbranch_vccnz .LBB2_559
; %bb.558:                              ;   in Loop: Header=BB2_90 Depth=1
	v_mov_b32_e32 v31, v40
	s_get_pc_i64 s[0:1]
	s_add_nc_u64 s[0:1], s[0:1], _Z44ncclDevFunc_Reduce_RING_SIMPLE_Sum_f16_0_0_4v@rel64+4
	s_mov_b64 s[4:5], s[48:49]
	s_mov_b64 s[6:7], s[38:39]
	;; [unrolled: 1-line block ×4, first 2 shown]
	s_swap_pc_i64 s[30:31], s[0:1]
.LBB2_559:                              ;   in Loop: Header=BB2_90 Depth=1
	s_mov_b32 s0, 0
.LBB2_560:                              ;   in Loop: Header=BB2_90 Depth=1
	s_delay_alu instid0(SALU_CYCLE_1)
	s_and_not1_b32 vcc_lo, exec_lo, s0
	s_cbranch_vccnz .LBB2_562
; %bb.561:                              ;   in Loop: Header=BB2_90 Depth=1
	v_mov_b32_e32 v31, v40
	s_get_pc_i64 s[0:1]
	s_add_nc_u64 s[0:1], s[0:1], _Z44ncclDevFunc_Reduce_RING_SIMPLE_Sum_u64_0_0_4v@rel64+4
	s_mov_b64 s[4:5], s[48:49]
	s_mov_b64 s[6:7], s[38:39]
	;; [unrolled: 1-line block ×4, first 2 shown]
	s_swap_pc_i64 s[30:31], s[0:1]
.LBB2_562:                              ;   in Loop: Header=BB2_90 Depth=1
	s_mov_b32 s0, 0
.LBB2_563:                              ;   in Loop: Header=BB2_90 Depth=1
	s_delay_alu instid0(SALU_CYCLE_1)
	s_and_not1_b32 vcc_lo, exec_lo, s0
	s_cbranch_vccnz .LBB2_576
; %bb.564:                              ;   in Loop: Header=BB2_90 Depth=1
	s_cmp_gt_u32 s101, 1
	s_mov_b32 s0, -1
	s_cbranch_scc0 .LBB2_574
; %bb.565:                              ;   in Loop: Header=BB2_90 Depth=1
	s_sext_i32_i16 s0, s100
	s_delay_alu instid0(SALU_CYCLE_1)
	s_cmp_lt_i32 s0, 3
	s_mov_b32 s0, -1
	s_cbranch_scc1 .LBB2_571
; %bb.566:                              ;   in Loop: Header=BB2_90 Depth=1
	s_cmp_lg_u32 s101, 3
	s_cbranch_scc0 .LBB2_568
; %bb.567:                              ;   in Loop: Header=BB2_90 Depth=1
	v_mov_b32_e32 v31, v40
	s_get_pc_i64 s[0:1]
	s_add_nc_u64 s[0:1], s[0:1], _Z44ncclDevFunc_Reduce_RING_SIMPLE_Sum_u32_0_0_4v@rel64+4
	s_mov_b64 s[4:5], s[48:49]
	s_mov_b64 s[6:7], s[38:39]
	;; [unrolled: 1-line block ×4, first 2 shown]
	s_swap_pc_i64 s[30:31], s[0:1]
	s_mov_b32 s0, 0
.LBB2_568:                              ;   in Loop: Header=BB2_90 Depth=1
	s_delay_alu instid0(SALU_CYCLE_1)
	s_and_not1_b32 vcc_lo, exec_lo, s0
	s_cbranch_vccnz .LBB2_570
; %bb.569:                              ;   in Loop: Header=BB2_90 Depth=1
	v_mov_b32_e32 v31, v40
	s_get_pc_i64 s[0:1]
	s_add_nc_u64 s[0:1], s[0:1], _Z43ncclDevFunc_Reduce_RING_SIMPLE_Sum_u8_0_0_4v@rel64+4
	s_mov_b64 s[4:5], s[48:49]
	s_mov_b64 s[6:7], s[38:39]
	;; [unrolled: 1-line block ×4, first 2 shown]
	s_swap_pc_i64 s[30:31], s[0:1]
.LBB2_570:                              ;   in Loop: Header=BB2_90 Depth=1
	s_mov_b32 s0, 0
.LBB2_571:                              ;   in Loop: Header=BB2_90 Depth=1
	s_delay_alu instid0(SALU_CYCLE_1)
	s_and_not1_b32 vcc_lo, exec_lo, s0
	s_cbranch_vccnz .LBB2_573
; %bb.572:                              ;   in Loop: Header=BB2_90 Depth=1
	v_mov_b32_e32 v31, v40
	s_get_pc_i64 s[0:1]
	s_add_nc_u64 s[0:1], s[0:1], _Z46ncclDevFunc_Broadcast_RING_SIMPLE_Sum_i8_0_0_4v@rel64+4
	s_mov_b64 s[4:5], s[48:49]
	s_mov_b64 s[6:7], s[38:39]
	s_mov_b64 s[8:9], s[50:51]
	s_mov_b64 s[10:11], s[34:35]
	s_swap_pc_i64 s[30:31], s[0:1]
.LBB2_573:                              ;   in Loop: Header=BB2_90 Depth=1
	s_mov_b32 s0, 0
.LBB2_574:                              ;   in Loop: Header=BB2_90 Depth=1
	s_delay_alu instid0(SALU_CYCLE_1)
	s_and_b32 vcc_lo, exec_lo, s0
	s_cbranch_vccz .LBB2_576
; %bb.575:                              ;   in Loop: Header=BB2_90 Depth=1
	v_mov_b32_e32 v31, v40
	s_get_pc_i64 s[0:1]
	s_add_nc_u64 s[0:1], s[0:1], _Z42ncclDevFunc_Broadcast_RING_LL_Sum_i8_0_0_4v@rel64+4
	s_mov_b64 s[4:5], s[48:49]
	s_mov_b64 s[6:7], s[38:39]
	;; [unrolled: 1-line block ×4, first 2 shown]
	s_swap_pc_i64 s[30:31], s[0:1]
.LBB2_576:                              ;   in Loop: Header=BB2_90 Depth=1
	ds_load_b32 v0, v41 offset:17060
	s_wait_dscnt 0x0
	v_cmp_eq_u32_e32 vcc_lo, -1, v0
	v_readfirstlane_b32 s2, v0
	s_cbranch_vccnz .LBB2_591
; %bb.577:                              ;   in Loop: Header=BB2_90 Depth=1
	s_wait_storecnt 0x0
	s_barrier_signal -1
	s_barrier_wait -1
	s_and_saveexec_b32 s0, s104
	s_cbranch_execz .LBB2_581
; %bb.578:                              ;   in Loop: Header=BB2_90 Depth=1
	s_and_saveexec_b32 s1, s52
; %bb.579:                              ;   in Loop: Header=BB2_90 Depth=1
	ds_store_b64 v41, v[42:43] offset:21208
; %bb.580:                              ;   in Loop: Header=BB2_90 Depth=1
	s_or_b32 exec_lo, exec_lo, s1
	ds_store_b64 v45, v[42:43]
.LBB2_581:                              ;   in Loop: Header=BB2_90 Depth=1
	s_or_b32 exec_lo, exec_lo, s0
	s_and_saveexec_b32 s0, s33
	s_cbranch_execz .LBB2_593
; %bb.582:                              ;   in Loop: Header=BB2_90 Depth=1
	ds_load_b32 v2, v41 offset:17068
	ds_load_b64 v[4:5], v41 offset:17040
	s_wait_dscnt 0x1
	v_ashrrev_i32_e32 v3, 31, v2
	s_wait_dscnt 0x0
	v_add_nc_u64_e32 v[0:1], 1, v[4:5]
	s_delay_alu instid0(VALU_DEP_2) | instskip(NEXT) | instid1(VALU_DEP_1)
	v_add_nc_u64_e32 v[6:7], v[4:5], v[2:3]
	v_cmp_gt_u64_e32 vcc_lo, v[0:1], v[6:7]
	s_cbranch_vccnz .LBB2_592
; %bb.583:                              ;   in Loop: Header=BB2_90 Depth=1
	ds_load_u8 v8, v41 offset:17064
	s_movk_i32 s1, 0x4f0e
	s_movk_i32 s3, 0x4eda
	s_branch .LBB2_585
.LBB2_584:                              ;   in Loop: Header=BB2_585 Depth=2
	s_wait_dscnt 0x0
	v_ashrrev_i32_e32 v3, 31, v2
	v_add_nc_u64_e32 v[0:1], 1, v[0:1]
	s_add_co_i32 s1, s1, 64
	s_addk_co_i32 s3, 0x80
	s_delay_alu instid0(VALU_DEP_2) | instskip(NEXT) | instid1(VALU_DEP_1)
	v_add_nc_u64_e32 v[6:7], v[4:5], v[2:3]
	v_cmp_le_u64_e32 vcc_lo, v[0:1], v[6:7]
	s_cbranch_vccz .LBB2_592
.LBB2_585:                              ;   Parent Loop BB2_90 Depth=1
                                        ; =>  This Inner Loop Header: Depth=2
	s_wait_dscnt 0x0
	v_and_b32_e32 v3, 0xff, v8
	s_delay_alu instid0(VALU_DEP_1)
	v_cmp_ne_u32_e32 vcc_lo, 0, v3
	s_cbranch_vccz .LBB2_590
; %bb.586:                              ;   in Loop: Header=BB2_585 Depth=2
	v_mov_b32_e32 v3, s3
	ds_load_u8 v3, v3
	s_wait_dscnt 0x0
	v_and_b32_e32 v3, 1, v3
	s_cbranch_execnz .LBB2_588
.LBB2_587:                              ;   in Loop: Header=BB2_585 Depth=2
	v_mov_b32_e32 v3, s1
	ds_load_u16 v3, v3
	s_wait_dscnt 0x0
	v_bfe_u32 v3, v3, 6, 1
.LBB2_588:                              ;   in Loop: Header=BB2_585 Depth=2
	s_delay_alu instid0(VALU_DEP_1)
	v_cmp_eq_u32_e32 vcc_lo, 0, v3
	s_cbranch_vccnz .LBB2_584
; %bb.589:                              ;   in Loop: Header=BB2_585 Depth=2
	s_sendmsg_rtn_b64 s[4:5], sendmsg(MSG_RTN_GET_REALTIME)
	ds_load_u8 v8, v41 offset:17064
	ds_load_b32 v2, v41 offset:16560
	ds_load_b64 v[4:5], v41 offset:16664
	s_wait_dscnt 0x1
	v_dual_ashrrev_i32 v3, 31, v2 :: v_dual_bitop2_b32 v6, 63, v0 bitop3:0x40
	s_delay_alu instid0(VALU_DEP_1) | instskip(SKIP_1) | instid1(VALU_DEP_1)
	v_lshlrev_b64_e32 v[2:3], 10, v[2:3]
	s_wait_dscnt 0x0
	v_add_nc_u64_e32 v[4:5], v[4:5], v[2:3]
	s_wait_kmcnt 0x0
	v_dual_mov_b32 v2, s4 :: v_dual_mov_b32 v3, s5
	s_delay_alu instid0(VALU_DEP_2) | instskip(NEXT) | instid1(VALU_DEP_3)
	v_readfirstlane_b32 s4, v4
	v_readfirstlane_b32 s5, v5
	flat_store_b128 v6, v[0:3], s[4:5] scale_offset
	ds_load_b64 v[4:5], v41 offset:17040
	s_wait_xcnt 0x0
	ds_load_b32 v2, v41 offset:17068
	s_branch .LBB2_584
.LBB2_590:                              ;   in Loop: Header=BB2_585 Depth=2
                                        ; implicit-def: $vgpr3
	s_branch .LBB2_587
.LBB2_591:                              ;   in Loop: Header=BB2_90 Depth=1
	s_cbranch_execz .LBB2_90
	s_branch .LBB2_76
.LBB2_592:                              ;   in Loop: Header=BB2_90 Depth=1
	ds_store_b64 v41, v[6:7] offset:17040
.LBB2_593:                              ;   in Loop: Header=BB2_90 Depth=1
	s_or_b32 exec_lo, exec_lo, s0
	v_mov_b32_e32 v8, v44
	s_mov_b32 s8, 0
                                        ; implicit-def: $vgpr0_vgpr1_vgpr2_vgpr3
	s_branch .LBB2_596
.LBB2_594:                              ;   in Loop: Header=BB2_596 Depth=2
	s_or_b32 exec_lo, exec_lo, s5
	v_mov_b32_e32 v4, v8
	s_mov_b32 s5, s2
.LBB2_595:                              ;   in Loop: Header=BB2_596 Depth=2
	s_delay_alu instid0(VALU_DEP_1)
	v_mov_b32_e32 v8, v4
	s_and_not1_b32 vcc_lo, exec_lo, s1
	s_mov_b32 s2, s5
	s_cbranch_vccz .LBB2_89
.LBB2_596:                              ;   Parent Loop BB2_90 Depth=1
                                        ; =>  This Inner Loop Header: Depth=2
	s_ashr_i32 s3, s2, 31
	s_delay_alu instid0(SALU_CYCLE_1) | instskip(NEXT) | instid1(SALU_CYCLE_1)
	s_lshl_b64 s[0:1], s[2:3], 4
	s_add_nc_u64 s[0:1], s[36:37], s[0:1]
	s_load_b128 s[4:7], s[0:1], 0x30
	s_wait_xcnt 0x0
	s_mov_b32 s0, exec_lo
	s_wait_kmcnt 0x0
	v_and_b32_e32 v4, s6, v47
	s_delay_alu instid0(VALU_DEP_1)
	v_cmpx_ne_u32_e32 0, v4
; %bb.597:                              ;   in Loop: Header=BB2_596 Depth=2
	v_and_b32_e32 v4, s6, v56
	s_delay_alu instid0(VALU_DEP_1)
	v_bcnt_u32_b32 v4, v4, v46
	ds_store_b8 v4, v44
; %bb.598:                              ;   in Loop: Header=BB2_596 Depth=2
	s_or_b32 exec_lo, exec_lo, s0
	v_and_b32_e32 v4, s7, v47
	s_bcnt1_i32_b32 s0, s6
	s_mov_b32 s1, exec_lo
	s_delay_alu instid0(VALU_DEP_1)
	v_cmpx_ne_u32_e32 0, v4
	s_cbranch_execz .LBB2_600
; %bb.599:                              ;   in Loop: Header=BB2_596 Depth=2
	v_and_b32_e32 v4, s7, v56
	s_delay_alu instid0(VALU_DEP_1) | instskip(NEXT) | instid1(VALU_DEP_1)
	v_bcnt_u32_b32 v4, v4, 0
	v_add3_u32 v4, v46, s0, v4
	ds_store_b8 v4, v57
.LBB2_600:                              ;   in Loop: Header=BB2_596 Depth=2
	s_or_b32 exec_lo, exec_lo, s1
	s_bcnt1_i32_b32 s6, s7
	s_bfe_u32 s3, s4, 0x2000f
	s_add_co_i32 s6, s6, s0
	s_cmp_lt_i32 s3, 1
	s_mov_b32 s0, -1
                                        ; implicit-def: $vgpr9
                                        ; implicit-def: $vgpr10
                                        ; implicit-def: $vgpr4
                                        ; implicit-def: $vgpr11
	s_cbranch_scc1 .LBB2_608
; %bb.601:                              ;   in Loop: Header=BB2_596 Depth=2
	s_cmp_lg_u32 s3, 1
                                        ; implicit-def: $vgpr9
                                        ; implicit-def: $vgpr10
                                        ; implicit-def: $vgpr4
	s_cbranch_scc0 .LBB2_603
; %bb.602:                              ;   in Loop: Header=BB2_596 Depth=2
	v_mul_hi_i32 v4, 0x66666667, v8
	s_mov_b32 s0, 0
	s_delay_alu instid0(VALU_DEP_1) | instskip(NEXT) | instid1(VALU_DEP_1)
	v_dual_lshrrev_b32 v5, 31, v4 :: v_dual_ashrrev_i32 v4, 3, v4
	v_add_nc_u32_e32 v9, v4, v5
	v_mul_u32_u24_e64 v4, s6, 20
	s_delay_alu instid0(VALU_DEP_2) | instskip(NEXT) | instid1(VALU_DEP_1)
	v_mul_lo_u32 v5, v9, 20
	v_sub_nc_u32_e32 v10, v8, v5
.LBB2_603:                              ;   in Loop: Header=BB2_596 Depth=2
	s_and_not1_b32 vcc_lo, exec_lo, s0
	s_movk_i32 s0, 0x140
	s_cbranch_vccnz .LBB2_605
; %bb.604:                              ;   in Loop: Header=BB2_596 Depth=2
	v_ashrrev_i32_e32 v4, 31, v8
	s_lshl_b32 s0, s6, 3
	s_delay_alu instid0(VALU_DEP_1) | instskip(NEXT) | instid1(VALU_DEP_1)
	v_lshrrev_b32_e32 v4, 29, v4
	v_add_nc_u32_e32 v4, v8, v4
	s_delay_alu instid0(VALU_DEP_1) | instskip(SKIP_2) | instid1(VALU_DEP_2)
	v_dual_ashrrev_i32 v9, 3, v4 :: v_dual_bitop2_b32 v5, -8, v4 bitop3:0x40
	v_mov_b32_e32 v4, s0
	s_movk_i32 s0, 0x80
	v_sub_nc_u32_e32 v10, v8, v5
.LBB2_605:                              ;   in Loop: Header=BB2_596 Depth=2
	v_mov_b32_e32 v11, s0
	s_cbranch_execz .LBB2_609
.LBB2_606:                              ;   in Loop: Header=BB2_596 Depth=2
	v_cmp_eq_u32_e64 s0, 0, v8
	s_and_saveexec_b32 s1, s0
	s_cbranch_execz .LBB2_610
.LBB2_607:                              ;   in Loop: Header=BB2_596 Depth=2
	ds_store_b32 v41, v11 offset:17072
	s_or_b32 exec_lo, exec_lo, s1
	s_delay_alu instid0(SALU_CYCLE_1)
	s_mov_b32 s7, exec_lo
	v_cmpx_lt_i32_e64 v8, v4
	s_cbranch_execz .LBB2_618
	s_branch .LBB2_611
.LBB2_608:                              ;   in Loop: Header=BB2_596 Depth=2
	s_and_not1_b32 vcc_lo, exec_lo, s0
	s_cbranch_vccnz .LBB2_606
.LBB2_609:                              ;   in Loop: Header=BB2_596 Depth=2
	v_dual_mov_b32 v11, 64 :: v_dual_ashrrev_i32 v4, 31, v8
	s_lshl_b32 s0, s6, 2
	s_delay_alu instid0(VALU_DEP_1) | instskip(NEXT) | instid1(VALU_DEP_1)
	v_lshrrev_b32_e32 v4, 30, v4
	v_add_nc_u32_e32 v4, v8, v4
	s_delay_alu instid0(VALU_DEP_1) | instskip(NEXT) | instid1(VALU_DEP_1)
	v_dual_ashrrev_i32 v9, 2, v4 :: v_dual_bitop2_b32 v5, -4, v4 bitop3:0x40
	v_dual_mov_b32 v4, s0 :: v_dual_sub_nc_u32 v10, v8, v5
	v_cmp_eq_u32_e64 s0, 0, v8
	s_and_saveexec_b32 s1, s0
	s_cbranch_execnz .LBB2_607
.LBB2_610:                              ;   in Loop: Header=BB2_596 Depth=2
	s_or_b32 exec_lo, exec_lo, s1
	s_delay_alu instid0(SALU_CYCLE_1)
	s_mov_b32 s7, exec_lo
	v_cmpx_lt_i32_e64 v8, v4
	s_cbranch_execz .LBB2_618
.LBB2_611:                              ;   in Loop: Header=BB2_596 Depth=2
	ds_load_u8 v4, v41 offset:16536
	v_dual_add_nc_u32 v5, v46, v9 :: v_dual_lshlrev_b32 v12, 4, v10
	ds_load_u8 v14, v5
	s_wait_dscnt 0x1
	v_cmp_ne_u32_e64 s1, 0, v4
	s_and_b32 vcc_lo, exec_lo, s1
	s_cbranch_vccz .LBB2_614
; %bb.612:                              ;   in Loop: Header=BB2_596 Depth=2
	s_and_b32 vcc_lo, exec_lo, s1
	s_mov_b32 s1, -1
                                        ; implicit-def: $vgpr4_vgpr5_vgpr6_vgpr7
                                        ; implicit-def: $vgpr13
	s_cbranch_vccz .LBB2_615
.LBB2_613:                              ;   in Loop: Header=BB2_596 Depth=2
	ds_load_b32 v6, v41 offset:16540
	ds_load_b64 v[4:5], v41 offset:16544
	s_wait_dscnt 0x2
	v_mul_u32_u24_e32 v7, v11, v14
	v_lshlrev_b32_e32 v13, 4, v10
	s_delay_alu instid0(VALU_DEP_1) | instskip(SKIP_1) | instid1(VALU_DEP_1)
	v_add3_u32 v7, v13, s5, v7
	s_wait_dscnt 0x1
	v_and_b32_e32 v6, v6, v7
	s_wait_dscnt 0x0
	v_readfirstlane_b32 s10, v4
	v_readfirstlane_b32 s11, v5
	flat_load_b128 v[4:7], v6, s[10:11]
	s_cbranch_execz .LBB2_616
	s_branch .LBB2_617
.LBB2_614:                              ;   in Loop: Header=BB2_596 Depth=2
	s_wait_dscnt 0x0
	v_mul_u32_u24_e32 v0, v11, v14
	v_lshlrev_b32_e32 v1, 4, v10
	s_delay_alu instid0(VALU_DEP_1)
	v_add3_u32 v0, v1, s5, v0
	global_load_b128 v[0:3], v0, s[36:37]
	s_and_b32 vcc_lo, exec_lo, s1
	s_mov_b32 s1, -1
                                        ; implicit-def: $vgpr4_vgpr5_vgpr6_vgpr7
                                        ; implicit-def: $vgpr13
	s_cbranch_vccnz .LBB2_613
.LBB2_615:                              ;   in Loop: Header=BB2_596 Depth=2
	s_and_not1_b32 vcc_lo, exec_lo, s1
	s_cbranch_vccnz .LBB2_617
.LBB2_616:                              ;   in Loop: Header=BB2_596 Depth=2
	s_wait_loadcnt_dscnt 0x0
	v_mov_b64_e32 v[6:7], v[2:3]
	v_mov_b64_e32 v[4:5], v[0:1]
	v_mov_b32_e32 v13, v12
.LBB2_617:                              ;   in Loop: Header=BB2_596 Depth=2
	s_wait_loadcnt 0x0
	v_add_nc_u32_e32 v0, s8, v9
	s_delay_alu instid0(VALU_DEP_1) | instskip(SKIP_1) | instid1(VALU_DEP_4)
	v_mad_u32 v9, v0, v11, v13
	s_wait_dscnt 0x0
	v_mov_b64_e32 v[0:1], v[4:5]
	v_mov_b64_e32 v[2:3], v[6:7]
	ds_store_b128 v9, v[4:7] offset:20176
.LBB2_618:                              ;   in Loop: Header=BB2_596 Depth=2
	s_or_b32 exec_lo, exec_lo, s7
	s_bitcmp0_b32 s4, 14
	v_readfirstlane_b32 s5, v0
	s_cselect_b32 s1, -1, 0
	s_mov_b32 s7, -1
	s_and_b32 vcc_lo, exec_lo, s1
                                        ; implicit-def: $vgpr4
	s_cbranch_vccnz .LBB2_620
; %bb.619:                              ;   in Loop: Header=BB2_596 Depth=2
	v_cmp_gt_i32_e32 vcc_lo, 64, v8
	s_and_b32 s5, s4, 0x3fff
	s_delay_alu instid0(SALU_CYCLE_1) | instskip(SKIP_1) | instid1(VALU_DEP_1)
	s_add_co_i32 s5, s5, s2
	v_cndmask_b32_e64 v4, 0, s53, vcc_lo
	v_add3_u32 v4, v8, v4, 0xffffffc0
	s_add_co_i32 s8, s6, s8
	s_cbranch_execnz .LBB2_595
	s_branch .LBB2_621
.LBB2_620:                              ;   in Loop: Header=BB2_596 Depth=2
	s_and_not1_b32 vcc_lo, exec_lo, s7
	s_add_co_i32 s8, s6, s8
	s_cbranch_vccnz .LBB2_595
.LBB2_621:                              ;   in Loop: Header=BB2_596 Depth=2
	s_and_saveexec_b32 s5, s0
	s_cbranch_execz .LBB2_594
; %bb.622:                              ;   in Loop: Header=BB2_596 Depth=2
	s_and_b32 s0, s4, 0x3fff
	v_dual_mov_b32 v4, s2 :: v_dual_mov_b32 v6, s3
	s_add_co_i32 s6, s0, s2
	s_cmp_lg_u32 s0, 0
	v_mov_b32_e32 v7, s8
	s_cselect_b32 s0, s6, -1
	s_delay_alu instid0(SALU_CYCLE_1) | instskip(SKIP_1) | instid1(SALU_CYCLE_1)
	v_dual_mov_b32 v8, 0 :: v_dual_mov_b32 v5, s0
	s_lshr_b32 s0, s4, 17
	v_mov_b32_e32 v9, s0
	ds_store_b64 v41, v[4:5] offset:17056
	ds_store_b8 v41, v6 offset:17064
	ds_store_b32 v41, v7 offset:17068
	ds_store_b16 v41, v9 offset:17066
	s_branch .LBB2_594
	.section	.rodata,"a",@progbits
	.p2align	6, 0x0
	.amdhsa_kernel _Z23ncclDevKernel_Generic_424ncclDevKernelArgsStorageILm4096EE
		.amdhsa_group_segment_fixed_size 21216
		.amdhsa_private_segment_fixed_size 16
		.amdhsa_kernarg_size 4352
		.amdhsa_user_sgpr_count 8
		.amdhsa_user_sgpr_dispatch_ptr 1
		.amdhsa_user_sgpr_queue_ptr 1
		.amdhsa_user_sgpr_kernarg_segment_ptr 1
		.amdhsa_user_sgpr_dispatch_id 1
		.amdhsa_user_sgpr_kernarg_preload_length 0
		.amdhsa_user_sgpr_kernarg_preload_offset 0
		.amdhsa_user_sgpr_private_segment_size 0
		.amdhsa_wavefront_size32 1
		.amdhsa_uses_dynamic_stack 1
		.amdhsa_enable_private_segment 1
		.amdhsa_system_sgpr_workgroup_id_x 1
		.amdhsa_system_sgpr_workgroup_id_y 1
		.amdhsa_system_sgpr_workgroup_id_z 1
		.amdhsa_system_sgpr_workgroup_info 0
		.amdhsa_system_vgpr_workitem_id 2
		.amdhsa_next_free_vgpr max(totalnumvgprs(_Z23ncclDevKernel_Generic_424ncclDevKernelArgsStorageILm4096EE.num_agpr, _Z23ncclDevKernel_Generic_424ncclDevKernelArgsStorageILm4096EE.num_vgpr), 1, 0)
		.amdhsa_next_free_sgpr max(_Z23ncclDevKernel_Generic_424ncclDevKernelArgsStorageILm4096EE.numbered_sgpr+2, 1, 0)-2
		.amdhsa_named_barrier_count (((((alignto(_Z23ncclDevKernel_Generic_424ncclDevKernelArgsStorageILm4096EE.num_named_barrier, 4)/4)<<14)&~4080)|1952)&114688)>>14
		.amdhsa_reserve_vcc 1
		.amdhsa_float_round_mode_32 0
		.amdhsa_float_round_mode_16_64 0
		.amdhsa_float_denorm_mode_32 3
		.amdhsa_float_denorm_mode_16_64 3
		.amdhsa_fp16_overflow 0
		.amdhsa_memory_ordered 1
		.amdhsa_forward_progress 1
		.amdhsa_inst_pref_size 122
		.amdhsa_round_robin_scheduling 0
		.amdhsa_exception_fp_ieee_invalid_op 0
		.amdhsa_exception_fp_denorm_src 0
		.amdhsa_exception_fp_ieee_div_zero 0
		.amdhsa_exception_fp_ieee_overflow 0
		.amdhsa_exception_fp_ieee_underflow 0
		.amdhsa_exception_fp_ieee_inexact 0
		.amdhsa_exception_int_div_zero 0
	.end_amdhsa_kernel
	.text
.Lfunc_end2:
	.size	_Z23ncclDevKernel_Generic_424ncclDevKernelArgsStorageILm4096EE, .Lfunc_end2-_Z23ncclDevKernel_Generic_424ncclDevKernelArgsStorageILm4096EE
                                        ; -- End function
	.set _Z23ncclDevKernel_Generic_424ncclDevKernelArgsStorageILm4096EE.num_vgpr, max(59, amdgpu.max_num_vgpr)
	.set _Z23ncclDevKernel_Generic_424ncclDevKernelArgsStorageILm4096EE.num_agpr, max(0, amdgpu.max_num_agpr)
	.set _Z23ncclDevKernel_Generic_424ncclDevKernelArgsStorageILm4096EE.numbered_sgpr, max(106, amdgpu.max_num_sgpr)
	.set _Z23ncclDevKernel_Generic_424ncclDevKernelArgsStorageILm4096EE.num_named_barrier, max(0, amdgpu.max_num_named_barrier)
	.set _Z23ncclDevKernel_Generic_424ncclDevKernelArgsStorageILm4096EE.private_seg_size, 16
	.set _Z23ncclDevKernel_Generic_424ncclDevKernelArgsStorageILm4096EE.uses_vcc, 1
	.set _Z23ncclDevKernel_Generic_424ncclDevKernelArgsStorageILm4096EE.uses_flat_scratch, 1
	.set _Z23ncclDevKernel_Generic_424ncclDevKernelArgsStorageILm4096EE.has_dyn_sized_stack, 1
	.set _Z23ncclDevKernel_Generic_424ncclDevKernelArgsStorageILm4096EE.has_recursion, 1
	.set _Z23ncclDevKernel_Generic_424ncclDevKernelArgsStorageILm4096EE.has_indirect_call, 1
	.section	.AMDGPU.csdata,"",@progbits
; Kernel info:
; codeLenInByte = 15524
; TotalNumSgprs: _Z23ncclDevKernel_Generic_424ncclDevKernelArgsStorageILm4096EE.numbered_sgpr+2
; NumVgprs: _Z23ncclDevKernel_Generic_424ncclDevKernelArgsStorageILm4096EE.num_vgpr
; ScratchSize: 16
; MemoryBound: 0
; FloatMode: 240
; IeeeMode: 1
; LDSByteSize: 21216 bytes/workgroup (compile time only)
; SGPRBlocks: 0
; VGPRBlocks: (alignto(max(max(totalnumvgprs(_Z23ncclDevKernel_Generic_424ncclDevKernelArgsStorageILm4096EE.num_agpr, _Z23ncclDevKernel_Generic_424ncclDevKernelArgsStorageILm4096EE.num_vgpr), 1, 0), 1), 16)/16)-1
; NumSGPRsForWavesPerEU: max(_Z23ncclDevKernel_Generic_424ncclDevKernelArgsStorageILm4096EE.numbered_sgpr+2, 1, 0)
; NumVGPRsForWavesPerEU: max(totalnumvgprs(_Z23ncclDevKernel_Generic_424ncclDevKernelArgsStorageILm4096EE.num_agpr, _Z23ncclDevKernel_Generic_424ncclDevKernelArgsStorageILm4096EE.num_vgpr), 1, 0)
; NamedBarCnt: alignto(_Z23ncclDevKernel_Generic_424ncclDevKernelArgsStorageILm4096EE.num_named_barrier, 4)/4
; Occupancy: occupancy(16, 16, 1024, 11, 16, max(_Z23ncclDevKernel_Generic_424ncclDevKernelArgsStorageILm4096EE.numbered_sgpr+extrasgprs(_Z23ncclDevKernel_Generic_424ncclDevKernelArgsStorageILm4096EE.uses_vcc, _Z23ncclDevKernel_Generic_424ncclDevKernelArgsStorageILm4096EE.uses_flat_scratch, 1), 1, 0), max(totalnumvgprs(_Z23ncclDevKernel_Generic_424ncclDevKernelArgsStorageILm4096EE.num_agpr, _Z23ncclDevKernel_Generic_424ncclDevKernelArgsStorageILm4096EE.num_vgpr), 1, 0))
; WaveLimiterHint : 0
; COMPUTE_PGM_RSRC2:SCRATCH_EN: 1
; COMPUTE_PGM_RSRC2:USER_SGPR: 8
; COMPUTE_PGM_RSRC2:TRAP_HANDLER: 0
; COMPUTE_PGM_RSRC2:TGID_X_EN: 1
; COMPUTE_PGM_RSRC2:TGID_Y_EN: 1
; COMPUTE_PGM_RSRC2:TGID_Z_EN: 1
; COMPUTE_PGM_RSRC2:TIDIG_COMP_CNT: 2
	.text
	.p2alignl 7, 3214868480
	.fill 96, 4, 3214868480
	.section	.AMDGPU.gpr_maximums,"",@progbits
	.set amdgpu.max_num_vgpr, 0
	.set amdgpu.max_num_agpr, 0
	.set amdgpu.max_num_sgpr, 0
	.text
	.type	__hip_cuid_52c12ea79759ed14,@object ; @__hip_cuid_52c12ea79759ed14
	.section	.bss,"aw",@nobits
	.globl	__hip_cuid_52c12ea79759ed14
__hip_cuid_52c12ea79759ed14:
	.byte	0                               ; 0x0
	.size	__hip_cuid_52c12ea79759ed14, 1

	.hidden	_Z42ncclDevFunc_Broadcast_RING_LL_Sum_i8_0_0_1v
	.hidden	_Z46ncclDevFunc_Broadcast_RING_SIMPLE_Sum_i8_0_0_1v
	.hidden	_Z43ncclDevFunc_Reduce_RING_SIMPLE_Sum_u8_0_0_1v
	.hidden	_Z44ncclDevFunc_Reduce_RING_SIMPLE_Sum_u32_0_0_1v
	.hidden	_Z44ncclDevFunc_Reduce_RING_SIMPLE_Sum_u64_0_0_1v
	.hidden	_Z44ncclDevFunc_Reduce_RING_SIMPLE_Sum_f16_0_0_1v
	.hidden	_Z44ncclDevFunc_Reduce_RING_SIMPLE_Sum_f32_0_0_1v
	.hidden	_Z44ncclDevFunc_Reduce_RING_SIMPLE_Sum_f64_0_0_1v
	.hidden	_Z45ncclDevFunc_Reduce_RING_SIMPLE_Sum_bf16_0_0_1v
	.hidden	_Z45ncclDevFunc_Reduce_RING_SIMPLE_Sum_bf16_0_1_1v
	.hidden	_Z47ncclDevFunc_Reduce_RING_SIMPLE_Sum_f8e4m3_0_0_1v
	.hidden	_Z47ncclDevFunc_Reduce_RING_SIMPLE_Sum_f8e5m2_0_0_1v
	.hidden	_Z44ncclDevFunc_Reduce_RING_SIMPLE_Prod_u8_0_0_1v
	.hidden	_Z45ncclDevFunc_Reduce_RING_SIMPLE_Prod_u32_0_0_1v
	.hidden	_Z45ncclDevFunc_Reduce_RING_SIMPLE_Prod_u64_0_0_1v
	.hidden	_Z45ncclDevFunc_Reduce_RING_SIMPLE_Prod_f16_0_0_1v
	.hidden	_Z45ncclDevFunc_Reduce_RING_SIMPLE_Prod_f32_0_0_1v
	.hidden	_Z45ncclDevFunc_Reduce_RING_SIMPLE_Prod_f64_0_0_1v
	.hidden	_Z46ncclDevFunc_Reduce_RING_SIMPLE_Prod_bf16_0_0_1v
	.hidden	_Z46ncclDevFunc_Reduce_RING_SIMPLE_Prod_bf16_0_1_1v
	.hidden	_Z48ncclDevFunc_Reduce_RING_SIMPLE_Prod_f8e4m3_0_0_1v
	.hidden	_Z48ncclDevFunc_Reduce_RING_SIMPLE_Prod_f8e5m2_0_0_1v
	.hidden	_Z46ncclDevFunc_Reduce_RING_SIMPLE_MinMax_u8_0_0_1v
	.hidden	_Z47ncclDevFunc_Reduce_RING_SIMPLE_MinMax_u32_0_0_1v
	.hidden	_Z47ncclDevFunc_Reduce_RING_SIMPLE_MinMax_u64_0_0_1v
	.hidden	_Z47ncclDevFunc_Reduce_RING_SIMPLE_MinMax_f16_0_0_1v
	.hidden	_Z47ncclDevFunc_Reduce_RING_SIMPLE_MinMax_f32_0_0_1v
	.hidden	_Z47ncclDevFunc_Reduce_RING_SIMPLE_MinMax_f64_0_0_1v
	.hidden	_Z48ncclDevFunc_Reduce_RING_SIMPLE_MinMax_bf16_0_0_1v
	.hidden	_Z48ncclDevFunc_Reduce_RING_SIMPLE_MinMax_bf16_0_1_1v
	.hidden	_Z50ncclDevFunc_Reduce_RING_SIMPLE_MinMax_f8e4m3_0_0_1v
	.hidden	_Z50ncclDevFunc_Reduce_RING_SIMPLE_MinMax_f8e5m2_0_0_1v
	.hidden	_Z49ncclDevFunc_Reduce_RING_SIMPLE_PreMulSum_u8_0_0_1v
	.hidden	_Z50ncclDevFunc_Reduce_RING_SIMPLE_PreMulSum_u32_0_0_1v
	.hidden	_Z50ncclDevFunc_Reduce_RING_SIMPLE_PreMulSum_u64_0_0_1v
	.hidden	_Z50ncclDevFunc_Reduce_RING_SIMPLE_PreMulSum_f16_0_0_1v
	.hidden	_Z50ncclDevFunc_Reduce_RING_SIMPLE_PreMulSum_f32_0_0_1v
	.hidden	_Z50ncclDevFunc_Reduce_RING_SIMPLE_PreMulSum_f64_0_0_1v
	.hidden	_Z51ncclDevFunc_Reduce_RING_SIMPLE_PreMulSum_bf16_0_0_1v
	.hidden	_Z51ncclDevFunc_Reduce_RING_SIMPLE_PreMulSum_bf16_0_1_1v
	.hidden	_Z53ncclDevFunc_Reduce_RING_SIMPLE_PreMulSum_f8e4m3_0_0_1v
	.hidden	_Z53ncclDevFunc_Reduce_RING_SIMPLE_PreMulSum_f8e5m2_0_0_1v
	.hidden	_Z50ncclDevFunc_Reduce_RING_SIMPLE_SumPostDiv_u8_0_0_1v
	.hidden	_Z51ncclDevFunc_Reduce_RING_SIMPLE_SumPostDiv_u32_0_0_1v
	.hidden	_Z51ncclDevFunc_Reduce_RING_SIMPLE_SumPostDiv_u64_0_0_1v
	.hidden	_Z42ncclDevFunc_AllGather_RING_LL_Sum_i8_0_0_1v
	.hidden	_Z46ncclDevFunc_AllGather_RING_SIMPLE_Sum_i8_0_0_1v
	.hidden	_Z41ncclDevFunc_AllGather_PAT_LL_Sum_i8_0_0_1v
	.hidden	_Z45ncclDevFunc_AllGather_PAT_SIMPLE_Sum_i8_0_0_1v
	.hidden	_Z46ncclDevFunc_ReduceScatter_RING_LL_Sum_u8_0_0_1v
	.hidden	_Z47ncclDevFunc_ReduceScatter_RING_LL_Sum_u32_0_0_1v
	.hidden	_Z47ncclDevFunc_ReduceScatter_RING_LL_Sum_u64_0_0_1v
	.hidden	_Z47ncclDevFunc_ReduceScatter_RING_LL_Sum_f16_0_0_1v
	.hidden	_Z47ncclDevFunc_ReduceScatter_RING_LL_Sum_f32_0_0_1v
	.hidden	_Z47ncclDevFunc_ReduceScatter_RING_LL_Sum_f64_0_0_1v
	.hidden	_Z48ncclDevFunc_ReduceScatter_RING_LL_Sum_bf16_0_0_1v
	.hidden	_Z50ncclDevFunc_ReduceScatter_RING_LL_Sum_f8e4m3_0_0_1v
	.hidden	_Z50ncclDevFunc_ReduceScatter_RING_LL_Sum_f8e5m2_0_0_1v
	.hidden	_Z47ncclDevFunc_ReduceScatter_RING_LL_Prod_u8_0_0_1v
	.hidden	_Z48ncclDevFunc_ReduceScatter_RING_LL_Prod_u32_0_0_1v
	.hidden	_Z48ncclDevFunc_ReduceScatter_RING_LL_Prod_u64_0_0_1v
	.hidden	_Z48ncclDevFunc_ReduceScatter_RING_LL_Prod_f16_0_0_1v
	.hidden	_Z48ncclDevFunc_ReduceScatter_RING_LL_Prod_f32_0_0_1v
	.hidden	_Z48ncclDevFunc_ReduceScatter_RING_LL_Prod_f64_0_0_1v
	.hidden	_Z49ncclDevFunc_ReduceScatter_RING_LL_Prod_bf16_0_0_1v
	.hidden	_Z51ncclDevFunc_ReduceScatter_RING_LL_Prod_f8e4m3_0_0_1v
	.hidden	_Z51ncclDevFunc_ReduceScatter_RING_LL_Prod_f8e5m2_0_0_1v
	.hidden	_Z49ncclDevFunc_ReduceScatter_RING_LL_MinMax_u8_0_0_1v
	.hidden	_Z50ncclDevFunc_ReduceScatter_RING_LL_MinMax_u32_0_0_1v
	.hidden	_Z50ncclDevFunc_ReduceScatter_RING_LL_MinMax_u64_0_0_1v
	.hidden	_Z50ncclDevFunc_ReduceScatter_RING_LL_MinMax_f16_0_0_1v
	.hidden	_Z50ncclDevFunc_ReduceScatter_RING_LL_MinMax_f32_0_0_1v
	.hidden	_Z50ncclDevFunc_ReduceScatter_RING_LL_MinMax_f64_0_0_1v
	.hidden	_Z51ncclDevFunc_ReduceScatter_RING_LL_MinMax_bf16_0_0_1v
	.hidden	_Z53ncclDevFunc_ReduceScatter_RING_LL_MinMax_f8e4m3_0_0_1v
	.hidden	_Z53ncclDevFunc_ReduceScatter_RING_LL_MinMax_f8e5m2_0_0_1v
	.hidden	_Z52ncclDevFunc_ReduceScatter_RING_LL_PreMulSum_u8_0_0_1v
	.hidden	_Z53ncclDevFunc_ReduceScatter_RING_LL_PreMulSum_u32_0_0_1v
	.hidden	_Z53ncclDevFunc_ReduceScatter_RING_LL_PreMulSum_u64_0_0_1v
	.hidden	_Z53ncclDevFunc_ReduceScatter_RING_LL_PreMulSum_f16_0_0_1v
	.hidden	_Z53ncclDevFunc_ReduceScatter_RING_LL_PreMulSum_f32_0_0_1v
	.hidden	_Z53ncclDevFunc_ReduceScatter_RING_LL_PreMulSum_f64_0_0_1v
	.hidden	_Z54ncclDevFunc_ReduceScatter_RING_LL_PreMulSum_bf16_0_0_1v
	.hidden	_Z56ncclDevFunc_ReduceScatter_RING_LL_PreMulSum_f8e4m3_0_0_1v
	.hidden	_Z56ncclDevFunc_ReduceScatter_RING_LL_PreMulSum_f8e5m2_0_0_1v
	.hidden	_Z53ncclDevFunc_ReduceScatter_RING_LL_SumPostDiv_u8_0_0_1v
	.hidden	_Z54ncclDevFunc_ReduceScatter_RING_LL_SumPostDiv_u32_0_0_1v
	.hidden	_Z54ncclDevFunc_ReduceScatter_RING_LL_SumPostDiv_u64_0_0_1v
	.hidden	_Z46ncclDevFunc_AllReduce_RING_SIMPLE_Sum_u8_0_0_1v
	.hidden	_Z47ncclDevFunc_AllReduce_RING_SIMPLE_Sum_u32_0_0_1v
	.hidden	_Z47ncclDevFunc_AllReduce_RING_SIMPLE_Sum_u64_0_0_1v
	.hidden	_Z47ncclDevFunc_AllReduce_RING_SIMPLE_Sum_f16_0_0_1v
	.hidden	_Z47ncclDevFunc_AllReduce_RING_SIMPLE_Sum_f32_0_0_1v
	.hidden	_Z47ncclDevFunc_AllReduce_RING_SIMPLE_Sum_f64_0_0_1v
	.hidden	_Z48ncclDevFunc_AllReduce_RING_SIMPLE_Sum_bf16_0_0_1v
	.hidden	_Z48ncclDevFunc_AllReduce_RING_SIMPLE_Sum_bf16_0_1_1v
	.hidden	_Z50ncclDevFunc_AllReduce_RING_SIMPLE_Sum_f8e4m3_0_0_1v
	.hidden	_Z50ncclDevFunc_AllReduce_RING_SIMPLE_Sum_f8e5m2_0_0_1v
	.hidden	_Z47ncclDevFunc_AllReduce_RING_SIMPLE_Prod_u8_0_0_1v
	.hidden	_Z48ncclDevFunc_AllReduce_RING_SIMPLE_Prod_u32_0_0_1v
	.hidden	_Z48ncclDevFunc_AllReduce_RING_SIMPLE_Prod_u64_0_0_1v
	.hidden	_Z48ncclDevFunc_AllReduce_RING_SIMPLE_Prod_f16_0_0_1v
	.hidden	_Z48ncclDevFunc_AllReduce_RING_SIMPLE_Prod_f32_0_0_1v
	.hidden	_Z48ncclDevFunc_AllReduce_RING_SIMPLE_Prod_f64_0_0_1v
	.hidden	_Z49ncclDevFunc_AllReduce_RING_SIMPLE_Prod_bf16_0_0_1v
	.hidden	_Z49ncclDevFunc_AllReduce_RING_SIMPLE_Prod_bf16_0_1_1v
	.hidden	_Z51ncclDevFunc_AllReduce_RING_SIMPLE_Prod_f8e4m3_0_0_1v
	.hidden	_Z51ncclDevFunc_AllReduce_RING_SIMPLE_Prod_f8e5m2_0_0_1v
	.hidden	_Z49ncclDevFunc_AllReduce_RING_SIMPLE_MinMax_u8_0_0_1v
	.hidden	_Z50ncclDevFunc_AllReduce_RING_SIMPLE_MinMax_u32_0_0_1v
	.hidden	_Z50ncclDevFunc_AllReduce_RING_SIMPLE_MinMax_u64_0_0_1v
	.hidden	_Z50ncclDevFunc_AllReduce_RING_SIMPLE_MinMax_f16_0_0_1v
	.hidden	_Z50ncclDevFunc_AllReduce_RING_SIMPLE_MinMax_f32_0_0_1v
	.hidden	_Z50ncclDevFunc_AllReduce_RING_SIMPLE_MinMax_f64_0_0_1v
	.hidden	_Z51ncclDevFunc_AllReduce_RING_SIMPLE_MinMax_bf16_0_0_1v
	.hidden	_Z51ncclDevFunc_AllReduce_RING_SIMPLE_MinMax_bf16_0_1_1v
	.hidden	_Z53ncclDevFunc_AllReduce_RING_SIMPLE_MinMax_f8e4m3_0_0_1v
	.hidden	_Z53ncclDevFunc_AllReduce_RING_SIMPLE_MinMax_f8e5m2_0_0_1v
	.hidden	_Z52ncclDevFunc_AllReduce_RING_SIMPLE_PreMulSum_u8_0_0_1v
	.hidden	_Z53ncclDevFunc_AllReduce_RING_SIMPLE_PreMulSum_u32_0_0_1v
	.hidden	_Z53ncclDevFunc_AllReduce_RING_SIMPLE_PreMulSum_u64_0_0_1v
	.hidden	_Z53ncclDevFunc_AllReduce_RING_SIMPLE_PreMulSum_f16_0_0_1v
	.hidden	_Z53ncclDevFunc_AllReduce_RING_SIMPLE_PreMulSum_f32_0_0_1v
	.hidden	_Z53ncclDevFunc_AllReduce_RING_SIMPLE_PreMulSum_f64_0_0_1v
	.hidden	_Z54ncclDevFunc_AllReduce_RING_SIMPLE_PreMulSum_bf16_0_0_1v
	.hidden	_Z54ncclDevFunc_AllReduce_RING_SIMPLE_PreMulSum_bf16_0_1_1v
	.hidden	_Z56ncclDevFunc_AllReduce_RING_SIMPLE_PreMulSum_f8e4m3_0_0_1v
	.hidden	_Z56ncclDevFunc_AllReduce_RING_SIMPLE_PreMulSum_f8e5m2_0_0_1v
	.hidden	_Z53ncclDevFunc_AllReduce_RING_SIMPLE_SumPostDiv_u8_0_0_1v
	.hidden	_Z54ncclDevFunc_AllReduce_RING_SIMPLE_SumPostDiv_u32_0_0_1v
	.hidden	_Z54ncclDevFunc_AllReduce_RING_SIMPLE_SumPostDiv_u64_0_0_1v
	.hidden	_Z45ncclDevFunc_SendRecv_RING_SIMPLE_Sum_i8_0_0_1v
	.hidden	_Z50ncclDevFunc_AlltoAllPivot_RING_SIMPLE_Sum_i8_0_0_1v
	.hidden	_Z42ncclDevFunc_Broadcast_RING_LL_Sum_i8_0_0_2v
	.hidden	_Z46ncclDevFunc_Broadcast_RING_SIMPLE_Sum_i8_0_0_2v
	.hidden	_Z43ncclDevFunc_Reduce_RING_SIMPLE_Sum_u8_0_0_2v
	.hidden	_Z44ncclDevFunc_Reduce_RING_SIMPLE_Sum_u32_0_0_2v
	.hidden	_Z44ncclDevFunc_Reduce_RING_SIMPLE_Sum_u64_0_0_2v
	.hidden	_Z44ncclDevFunc_Reduce_RING_SIMPLE_Sum_f16_0_0_2v
	.hidden	_Z44ncclDevFunc_Reduce_RING_SIMPLE_Sum_f32_0_0_2v
	.hidden	_Z44ncclDevFunc_Reduce_RING_SIMPLE_Sum_f64_0_0_2v
	.hidden	_Z45ncclDevFunc_Reduce_RING_SIMPLE_Sum_bf16_0_0_2v
	.hidden	_Z45ncclDevFunc_Reduce_RING_SIMPLE_Sum_bf16_0_1_2v
	.hidden	_Z47ncclDevFunc_Reduce_RING_SIMPLE_Sum_f8e4m3_0_0_2v
	.hidden	_Z47ncclDevFunc_Reduce_RING_SIMPLE_Sum_f8e5m2_0_0_2v
	.hidden	_Z44ncclDevFunc_Reduce_RING_SIMPLE_Prod_u8_0_0_2v
	.hidden	_Z45ncclDevFunc_Reduce_RING_SIMPLE_Prod_u32_0_0_2v
	.hidden	_Z45ncclDevFunc_Reduce_RING_SIMPLE_Prod_u64_0_0_2v
	.hidden	_Z45ncclDevFunc_Reduce_RING_SIMPLE_Prod_f16_0_0_2v
	.hidden	_Z45ncclDevFunc_Reduce_RING_SIMPLE_Prod_f32_0_0_2v
	.hidden	_Z45ncclDevFunc_Reduce_RING_SIMPLE_Prod_f64_0_0_2v
	.hidden	_Z46ncclDevFunc_Reduce_RING_SIMPLE_Prod_bf16_0_0_2v
	.hidden	_Z46ncclDevFunc_Reduce_RING_SIMPLE_Prod_bf16_0_1_2v
	.hidden	_Z48ncclDevFunc_Reduce_RING_SIMPLE_Prod_f8e4m3_0_0_2v
	.hidden	_Z48ncclDevFunc_Reduce_RING_SIMPLE_Prod_f8e5m2_0_0_2v
	.hidden	_Z46ncclDevFunc_Reduce_RING_SIMPLE_MinMax_u8_0_0_2v
	.hidden	_Z47ncclDevFunc_Reduce_RING_SIMPLE_MinMax_u32_0_0_2v
	.hidden	_Z47ncclDevFunc_Reduce_RING_SIMPLE_MinMax_u64_0_0_2v
	.hidden	_Z47ncclDevFunc_Reduce_RING_SIMPLE_MinMax_f16_0_0_2v
	.hidden	_Z47ncclDevFunc_Reduce_RING_SIMPLE_MinMax_f32_0_0_2v
	.hidden	_Z47ncclDevFunc_Reduce_RING_SIMPLE_MinMax_f64_0_0_2v
	.hidden	_Z48ncclDevFunc_Reduce_RING_SIMPLE_MinMax_bf16_0_0_2v
	.hidden	_Z48ncclDevFunc_Reduce_RING_SIMPLE_MinMax_bf16_0_1_2v
	.hidden	_Z50ncclDevFunc_Reduce_RING_SIMPLE_MinMax_f8e4m3_0_0_2v
	.hidden	_Z50ncclDevFunc_Reduce_RING_SIMPLE_MinMax_f8e5m2_0_0_2v
	.hidden	_Z49ncclDevFunc_Reduce_RING_SIMPLE_PreMulSum_u8_0_0_2v
	.hidden	_Z50ncclDevFunc_Reduce_RING_SIMPLE_PreMulSum_u32_0_0_2v
	.hidden	_Z50ncclDevFunc_Reduce_RING_SIMPLE_PreMulSum_u64_0_0_2v
	.hidden	_Z50ncclDevFunc_Reduce_RING_SIMPLE_PreMulSum_f16_0_0_2v
	.hidden	_Z50ncclDevFunc_Reduce_RING_SIMPLE_PreMulSum_f32_0_0_2v
	.hidden	_Z50ncclDevFunc_Reduce_RING_SIMPLE_PreMulSum_f64_0_0_2v
	.hidden	_Z51ncclDevFunc_Reduce_RING_SIMPLE_PreMulSum_bf16_0_0_2v
	.hidden	_Z51ncclDevFunc_Reduce_RING_SIMPLE_PreMulSum_bf16_0_1_2v
	.hidden	_Z53ncclDevFunc_Reduce_RING_SIMPLE_PreMulSum_f8e4m3_0_0_2v
	.hidden	_Z53ncclDevFunc_Reduce_RING_SIMPLE_PreMulSum_f8e5m2_0_0_2v
	.hidden	_Z50ncclDevFunc_Reduce_RING_SIMPLE_SumPostDiv_u8_0_0_2v
	.hidden	_Z51ncclDevFunc_Reduce_RING_SIMPLE_SumPostDiv_u32_0_0_2v
	.hidden	_Z51ncclDevFunc_Reduce_RING_SIMPLE_SumPostDiv_u64_0_0_2v
	.hidden	_Z42ncclDevFunc_AllGather_RING_LL_Sum_i8_0_0_2v
	.hidden	_Z46ncclDevFunc_AllGather_RING_SIMPLE_Sum_i8_0_0_2v
	.hidden	_Z41ncclDevFunc_AllGather_PAT_LL_Sum_i8_0_0_2v
	.hidden	_Z45ncclDevFunc_AllGather_PAT_SIMPLE_Sum_i8_0_0_2v
	.hidden	_Z46ncclDevFunc_ReduceScatter_RING_LL_Sum_u8_0_0_2v
	.hidden	_Z47ncclDevFunc_ReduceScatter_RING_LL_Sum_u32_0_0_2v
	.hidden	_Z47ncclDevFunc_ReduceScatter_RING_LL_Sum_u64_0_0_2v
	.hidden	_Z47ncclDevFunc_ReduceScatter_RING_LL_Sum_f16_0_0_2v
	.hidden	_Z47ncclDevFunc_ReduceScatter_RING_LL_Sum_f32_0_0_2v
	.hidden	_Z47ncclDevFunc_ReduceScatter_RING_LL_Sum_f64_0_0_2v
	.hidden	_Z48ncclDevFunc_ReduceScatter_RING_LL_Sum_bf16_0_0_2v
	.hidden	_Z50ncclDevFunc_ReduceScatter_RING_LL_Sum_f8e4m3_0_0_2v
	.hidden	_Z50ncclDevFunc_ReduceScatter_RING_LL_Sum_f8e5m2_0_0_2v
	.hidden	_Z47ncclDevFunc_ReduceScatter_RING_LL_Prod_u8_0_0_2v
	.hidden	_Z48ncclDevFunc_ReduceScatter_RING_LL_Prod_u32_0_0_2v
	.hidden	_Z48ncclDevFunc_ReduceScatter_RING_LL_Prod_u64_0_0_2v
	.hidden	_Z48ncclDevFunc_ReduceScatter_RING_LL_Prod_f16_0_0_2v
	.hidden	_Z48ncclDevFunc_ReduceScatter_RING_LL_Prod_f32_0_0_2v
	.hidden	_Z48ncclDevFunc_ReduceScatter_RING_LL_Prod_f64_0_0_2v
	.hidden	_Z49ncclDevFunc_ReduceScatter_RING_LL_Prod_bf16_0_0_2v
	.hidden	_Z51ncclDevFunc_ReduceScatter_RING_LL_Prod_f8e4m3_0_0_2v
	.hidden	_Z51ncclDevFunc_ReduceScatter_RING_LL_Prod_f8e5m2_0_0_2v
	.hidden	_Z49ncclDevFunc_ReduceScatter_RING_LL_MinMax_u8_0_0_2v
	.hidden	_Z50ncclDevFunc_ReduceScatter_RING_LL_MinMax_u32_0_0_2v
	.hidden	_Z50ncclDevFunc_ReduceScatter_RING_LL_MinMax_u64_0_0_2v
	.hidden	_Z50ncclDevFunc_ReduceScatter_RING_LL_MinMax_f16_0_0_2v
	.hidden	_Z50ncclDevFunc_ReduceScatter_RING_LL_MinMax_f32_0_0_2v
	.hidden	_Z50ncclDevFunc_ReduceScatter_RING_LL_MinMax_f64_0_0_2v
	.hidden	_Z51ncclDevFunc_ReduceScatter_RING_LL_MinMax_bf16_0_0_2v
	.hidden	_Z53ncclDevFunc_ReduceScatter_RING_LL_MinMax_f8e4m3_0_0_2v
	.hidden	_Z53ncclDevFunc_ReduceScatter_RING_LL_MinMax_f8e5m2_0_0_2v
	.hidden	_Z52ncclDevFunc_ReduceScatter_RING_LL_PreMulSum_u8_0_0_2v
	.hidden	_Z53ncclDevFunc_ReduceScatter_RING_LL_PreMulSum_u32_0_0_2v
	.hidden	_Z53ncclDevFunc_ReduceScatter_RING_LL_PreMulSum_u64_0_0_2v
	.hidden	_Z53ncclDevFunc_ReduceScatter_RING_LL_PreMulSum_f16_0_0_2v
	.hidden	_Z53ncclDevFunc_ReduceScatter_RING_LL_PreMulSum_f32_0_0_2v
	.hidden	_Z53ncclDevFunc_ReduceScatter_RING_LL_PreMulSum_f64_0_0_2v
	.hidden	_Z54ncclDevFunc_ReduceScatter_RING_LL_PreMulSum_bf16_0_0_2v
	.hidden	_Z56ncclDevFunc_ReduceScatter_RING_LL_PreMulSum_f8e4m3_0_0_2v
	.hidden	_Z56ncclDevFunc_ReduceScatter_RING_LL_PreMulSum_f8e5m2_0_0_2v
	.hidden	_Z53ncclDevFunc_ReduceScatter_RING_LL_SumPostDiv_u8_0_0_2v
	.hidden	_Z54ncclDevFunc_ReduceScatter_RING_LL_SumPostDiv_u32_0_0_2v
	.hidden	_Z54ncclDevFunc_ReduceScatter_RING_LL_SumPostDiv_u64_0_0_2v
	.hidden	_Z46ncclDevFunc_AllReduce_RING_SIMPLE_Sum_u8_0_0_2v
	.hidden	_Z47ncclDevFunc_AllReduce_RING_SIMPLE_Sum_u32_0_0_2v
	.hidden	_Z47ncclDevFunc_AllReduce_RING_SIMPLE_Sum_u64_0_0_2v
	.hidden	_Z47ncclDevFunc_AllReduce_RING_SIMPLE_Sum_f16_0_0_2v
	.hidden	_Z47ncclDevFunc_AllReduce_RING_SIMPLE_Sum_f32_0_0_2v
	.hidden	_Z47ncclDevFunc_AllReduce_RING_SIMPLE_Sum_f64_0_0_2v
	.hidden	_Z48ncclDevFunc_AllReduce_RING_SIMPLE_Sum_bf16_0_0_2v
	.hidden	_Z48ncclDevFunc_AllReduce_RING_SIMPLE_Sum_bf16_0_1_2v
	.hidden	_Z50ncclDevFunc_AllReduce_RING_SIMPLE_Sum_f8e4m3_0_0_2v
	.hidden	_Z50ncclDevFunc_AllReduce_RING_SIMPLE_Sum_f8e5m2_0_0_2v
	.hidden	_Z47ncclDevFunc_AllReduce_RING_SIMPLE_Prod_u8_0_0_2v
	.hidden	_Z48ncclDevFunc_AllReduce_RING_SIMPLE_Prod_u32_0_0_2v
	.hidden	_Z48ncclDevFunc_AllReduce_RING_SIMPLE_Prod_u64_0_0_2v
	.hidden	_Z48ncclDevFunc_AllReduce_RING_SIMPLE_Prod_f16_0_0_2v
	.hidden	_Z48ncclDevFunc_AllReduce_RING_SIMPLE_Prod_f32_0_0_2v
	.hidden	_Z48ncclDevFunc_AllReduce_RING_SIMPLE_Prod_f64_0_0_2v
	.hidden	_Z49ncclDevFunc_AllReduce_RING_SIMPLE_Prod_bf16_0_0_2v
	.hidden	_Z49ncclDevFunc_AllReduce_RING_SIMPLE_Prod_bf16_0_1_2v
	.hidden	_Z51ncclDevFunc_AllReduce_RING_SIMPLE_Prod_f8e4m3_0_0_2v
	.hidden	_Z51ncclDevFunc_AllReduce_RING_SIMPLE_Prod_f8e5m2_0_0_2v
	.hidden	_Z49ncclDevFunc_AllReduce_RING_SIMPLE_MinMax_u8_0_0_2v
	.hidden	_Z50ncclDevFunc_AllReduce_RING_SIMPLE_MinMax_u32_0_0_2v
	.hidden	_Z50ncclDevFunc_AllReduce_RING_SIMPLE_MinMax_u64_0_0_2v
	.hidden	_Z50ncclDevFunc_AllReduce_RING_SIMPLE_MinMax_f16_0_0_2v
	.hidden	_Z50ncclDevFunc_AllReduce_RING_SIMPLE_MinMax_f32_0_0_2v
	.hidden	_Z50ncclDevFunc_AllReduce_RING_SIMPLE_MinMax_f64_0_0_2v
	.hidden	_Z51ncclDevFunc_AllReduce_RING_SIMPLE_MinMax_bf16_0_0_2v
	.hidden	_Z51ncclDevFunc_AllReduce_RING_SIMPLE_MinMax_bf16_0_1_2v
	.hidden	_Z53ncclDevFunc_AllReduce_RING_SIMPLE_MinMax_f8e4m3_0_0_2v
	.hidden	_Z53ncclDevFunc_AllReduce_RING_SIMPLE_MinMax_f8e5m2_0_0_2v
	.hidden	_Z52ncclDevFunc_AllReduce_RING_SIMPLE_PreMulSum_u8_0_0_2v
	.hidden	_Z53ncclDevFunc_AllReduce_RING_SIMPLE_PreMulSum_u32_0_0_2v
	.hidden	_Z53ncclDevFunc_AllReduce_RING_SIMPLE_PreMulSum_u64_0_0_2v
	.hidden	_Z53ncclDevFunc_AllReduce_RING_SIMPLE_PreMulSum_f16_0_0_2v
	.hidden	_Z53ncclDevFunc_AllReduce_RING_SIMPLE_PreMulSum_f32_0_0_2v
	.hidden	_Z53ncclDevFunc_AllReduce_RING_SIMPLE_PreMulSum_f64_0_0_2v
	.hidden	_Z54ncclDevFunc_AllReduce_RING_SIMPLE_PreMulSum_bf16_0_0_2v
	.hidden	_Z54ncclDevFunc_AllReduce_RING_SIMPLE_PreMulSum_bf16_0_1_2v
	.hidden	_Z56ncclDevFunc_AllReduce_RING_SIMPLE_PreMulSum_f8e4m3_0_0_2v
	.hidden	_Z56ncclDevFunc_AllReduce_RING_SIMPLE_PreMulSum_f8e5m2_0_0_2v
	.hidden	_Z53ncclDevFunc_AllReduce_RING_SIMPLE_SumPostDiv_u8_0_0_2v
	.hidden	_Z54ncclDevFunc_AllReduce_RING_SIMPLE_SumPostDiv_u32_0_0_2v
	.hidden	_Z54ncclDevFunc_AllReduce_RING_SIMPLE_SumPostDiv_u64_0_0_2v
	.hidden	_Z45ncclDevFunc_SendRecv_RING_SIMPLE_Sum_i8_0_0_2v
	.hidden	_Z50ncclDevFunc_AlltoAllPivot_RING_SIMPLE_Sum_i8_0_0_2v
	.hidden	_Z42ncclDevFunc_Broadcast_RING_LL_Sum_i8_0_0_4v
	.hidden	_Z46ncclDevFunc_Broadcast_RING_SIMPLE_Sum_i8_0_0_4v
	.hidden	_Z43ncclDevFunc_Reduce_RING_SIMPLE_Sum_u8_0_0_4v
	.hidden	_Z44ncclDevFunc_Reduce_RING_SIMPLE_Sum_u32_0_0_4v
	.hidden	_Z44ncclDevFunc_Reduce_RING_SIMPLE_Sum_u64_0_0_4v
	.hidden	_Z44ncclDevFunc_Reduce_RING_SIMPLE_Sum_f16_0_0_4v
	.hidden	_Z44ncclDevFunc_Reduce_RING_SIMPLE_Sum_f32_0_0_4v
	.hidden	_Z44ncclDevFunc_Reduce_RING_SIMPLE_Sum_f64_0_0_4v
	.hidden	_Z45ncclDevFunc_Reduce_RING_SIMPLE_Sum_bf16_0_0_4v
	.hidden	_Z45ncclDevFunc_Reduce_RING_SIMPLE_Sum_bf16_0_1_4v
	.hidden	_Z47ncclDevFunc_Reduce_RING_SIMPLE_Sum_f8e4m3_0_0_4v
	.hidden	_Z47ncclDevFunc_Reduce_RING_SIMPLE_Sum_f8e5m2_0_0_4v
	.hidden	_Z44ncclDevFunc_Reduce_RING_SIMPLE_Prod_u8_0_0_4v
	.hidden	_Z45ncclDevFunc_Reduce_RING_SIMPLE_Prod_u32_0_0_4v
	.hidden	_Z45ncclDevFunc_Reduce_RING_SIMPLE_Prod_u64_0_0_4v
	.hidden	_Z45ncclDevFunc_Reduce_RING_SIMPLE_Prod_f16_0_0_4v
	.hidden	_Z45ncclDevFunc_Reduce_RING_SIMPLE_Prod_f32_0_0_4v
	.hidden	_Z45ncclDevFunc_Reduce_RING_SIMPLE_Prod_f64_0_0_4v
	.hidden	_Z46ncclDevFunc_Reduce_RING_SIMPLE_Prod_bf16_0_0_4v
	.hidden	_Z46ncclDevFunc_Reduce_RING_SIMPLE_Prod_bf16_0_1_4v
	.hidden	_Z48ncclDevFunc_Reduce_RING_SIMPLE_Prod_f8e4m3_0_0_4v
	.hidden	_Z48ncclDevFunc_Reduce_RING_SIMPLE_Prod_f8e5m2_0_0_4v
	.hidden	_Z46ncclDevFunc_Reduce_RING_SIMPLE_MinMax_u8_0_0_4v
	.hidden	_Z47ncclDevFunc_Reduce_RING_SIMPLE_MinMax_u32_0_0_4v
	.hidden	_Z47ncclDevFunc_Reduce_RING_SIMPLE_MinMax_u64_0_0_4v
	.hidden	_Z47ncclDevFunc_Reduce_RING_SIMPLE_MinMax_f16_0_0_4v
	.hidden	_Z47ncclDevFunc_Reduce_RING_SIMPLE_MinMax_f32_0_0_4v
	.hidden	_Z47ncclDevFunc_Reduce_RING_SIMPLE_MinMax_f64_0_0_4v
	.hidden	_Z48ncclDevFunc_Reduce_RING_SIMPLE_MinMax_bf16_0_0_4v
	.hidden	_Z48ncclDevFunc_Reduce_RING_SIMPLE_MinMax_bf16_0_1_4v
	.hidden	_Z50ncclDevFunc_Reduce_RING_SIMPLE_MinMax_f8e4m3_0_0_4v
	.hidden	_Z50ncclDevFunc_Reduce_RING_SIMPLE_MinMax_f8e5m2_0_0_4v
	.hidden	_Z49ncclDevFunc_Reduce_RING_SIMPLE_PreMulSum_u8_0_0_4v
	.hidden	_Z50ncclDevFunc_Reduce_RING_SIMPLE_PreMulSum_u32_0_0_4v
	.hidden	_Z50ncclDevFunc_Reduce_RING_SIMPLE_PreMulSum_u64_0_0_4v
	.hidden	_Z50ncclDevFunc_Reduce_RING_SIMPLE_PreMulSum_f16_0_0_4v
	.hidden	_Z50ncclDevFunc_Reduce_RING_SIMPLE_PreMulSum_f32_0_0_4v
	.hidden	_Z50ncclDevFunc_Reduce_RING_SIMPLE_PreMulSum_f64_0_0_4v
	.hidden	_Z51ncclDevFunc_Reduce_RING_SIMPLE_PreMulSum_bf16_0_0_4v
	.hidden	_Z51ncclDevFunc_Reduce_RING_SIMPLE_PreMulSum_bf16_0_1_4v
	.hidden	_Z53ncclDevFunc_Reduce_RING_SIMPLE_PreMulSum_f8e4m3_0_0_4v
	.hidden	_Z53ncclDevFunc_Reduce_RING_SIMPLE_PreMulSum_f8e5m2_0_0_4v
	.hidden	_Z50ncclDevFunc_Reduce_RING_SIMPLE_SumPostDiv_u8_0_0_4v
	.hidden	_Z51ncclDevFunc_Reduce_RING_SIMPLE_SumPostDiv_u32_0_0_4v
	.hidden	_Z51ncclDevFunc_Reduce_RING_SIMPLE_SumPostDiv_u64_0_0_4v
	.hidden	_Z42ncclDevFunc_AllGather_RING_LL_Sum_i8_0_0_4v
	.hidden	_Z46ncclDevFunc_AllGather_RING_SIMPLE_Sum_i8_0_0_4v
	.hidden	_Z41ncclDevFunc_AllGather_PAT_LL_Sum_i8_0_0_4v
	.hidden	_Z45ncclDevFunc_AllGather_PAT_SIMPLE_Sum_i8_0_0_4v
	.hidden	_Z46ncclDevFunc_ReduceScatter_RING_LL_Sum_u8_0_0_4v
	.hidden	_Z47ncclDevFunc_ReduceScatter_RING_LL_Sum_u32_0_0_4v
	.hidden	_Z47ncclDevFunc_ReduceScatter_RING_LL_Sum_u64_0_0_4v
	.hidden	_Z47ncclDevFunc_ReduceScatter_RING_LL_Sum_f16_0_0_4v
	.hidden	_Z47ncclDevFunc_ReduceScatter_RING_LL_Sum_f32_0_0_4v
	.hidden	_Z47ncclDevFunc_ReduceScatter_RING_LL_Sum_f64_0_0_4v
	.hidden	_Z48ncclDevFunc_ReduceScatter_RING_LL_Sum_bf16_0_0_4v
	.hidden	_Z50ncclDevFunc_ReduceScatter_RING_LL_Sum_f8e4m3_0_0_4v
	.hidden	_Z50ncclDevFunc_ReduceScatter_RING_LL_Sum_f8e5m2_0_0_4v
	.hidden	_Z47ncclDevFunc_ReduceScatter_RING_LL_Prod_u8_0_0_4v
	.hidden	_Z48ncclDevFunc_ReduceScatter_RING_LL_Prod_u32_0_0_4v
	.hidden	_Z48ncclDevFunc_ReduceScatter_RING_LL_Prod_u64_0_0_4v
	.hidden	_Z48ncclDevFunc_ReduceScatter_RING_LL_Prod_f16_0_0_4v
	.hidden	_Z48ncclDevFunc_ReduceScatter_RING_LL_Prod_f32_0_0_4v
	.hidden	_Z48ncclDevFunc_ReduceScatter_RING_LL_Prod_f64_0_0_4v
	.hidden	_Z49ncclDevFunc_ReduceScatter_RING_LL_Prod_bf16_0_0_4v
	.hidden	_Z51ncclDevFunc_ReduceScatter_RING_LL_Prod_f8e4m3_0_0_4v
	.hidden	_Z51ncclDevFunc_ReduceScatter_RING_LL_Prod_f8e5m2_0_0_4v
	.hidden	_Z49ncclDevFunc_ReduceScatter_RING_LL_MinMax_u8_0_0_4v
	.hidden	_Z50ncclDevFunc_ReduceScatter_RING_LL_MinMax_u32_0_0_4v
	.hidden	_Z50ncclDevFunc_ReduceScatter_RING_LL_MinMax_u64_0_0_4v
	.hidden	_Z50ncclDevFunc_ReduceScatter_RING_LL_MinMax_f16_0_0_4v
	.hidden	_Z50ncclDevFunc_ReduceScatter_RING_LL_MinMax_f32_0_0_4v
	.hidden	_Z50ncclDevFunc_ReduceScatter_RING_LL_MinMax_f64_0_0_4v
	.hidden	_Z51ncclDevFunc_ReduceScatter_RING_LL_MinMax_bf16_0_0_4v
	.hidden	_Z53ncclDevFunc_ReduceScatter_RING_LL_MinMax_f8e4m3_0_0_4v
	.hidden	_Z53ncclDevFunc_ReduceScatter_RING_LL_MinMax_f8e5m2_0_0_4v
	.hidden	_Z52ncclDevFunc_ReduceScatter_RING_LL_PreMulSum_u8_0_0_4v
	.hidden	_Z53ncclDevFunc_ReduceScatter_RING_LL_PreMulSum_u32_0_0_4v
	.hidden	_Z53ncclDevFunc_ReduceScatter_RING_LL_PreMulSum_u64_0_0_4v
	.hidden	_Z53ncclDevFunc_ReduceScatter_RING_LL_PreMulSum_f16_0_0_4v
	.hidden	_Z53ncclDevFunc_ReduceScatter_RING_LL_PreMulSum_f32_0_0_4v
	.hidden	_Z53ncclDevFunc_ReduceScatter_RING_LL_PreMulSum_f64_0_0_4v
	.hidden	_Z54ncclDevFunc_ReduceScatter_RING_LL_PreMulSum_bf16_0_0_4v
	.hidden	_Z56ncclDevFunc_ReduceScatter_RING_LL_PreMulSum_f8e4m3_0_0_4v
	.hidden	_Z56ncclDevFunc_ReduceScatter_RING_LL_PreMulSum_f8e5m2_0_0_4v
	.hidden	_Z53ncclDevFunc_ReduceScatter_RING_LL_SumPostDiv_u8_0_0_4v
	.hidden	_Z54ncclDevFunc_ReduceScatter_RING_LL_SumPostDiv_u32_0_0_4v
	.hidden	_Z54ncclDevFunc_ReduceScatter_RING_LL_SumPostDiv_u64_0_0_4v
	.hidden	_Z46ncclDevFunc_AllReduce_RING_SIMPLE_Sum_u8_0_0_4v
	.hidden	_Z47ncclDevFunc_AllReduce_RING_SIMPLE_Sum_u32_0_0_4v
	.hidden	_Z47ncclDevFunc_AllReduce_RING_SIMPLE_Sum_u64_0_0_4v
	.hidden	_Z47ncclDevFunc_AllReduce_RING_SIMPLE_Sum_f16_0_0_4v
	.hidden	_Z47ncclDevFunc_AllReduce_RING_SIMPLE_Sum_f32_0_0_4v
	.hidden	_Z47ncclDevFunc_AllReduce_RING_SIMPLE_Sum_f64_0_0_4v
	.hidden	_Z48ncclDevFunc_AllReduce_RING_SIMPLE_Sum_bf16_0_0_4v
	.hidden	_Z48ncclDevFunc_AllReduce_RING_SIMPLE_Sum_bf16_0_1_4v
	.hidden	_Z50ncclDevFunc_AllReduce_RING_SIMPLE_Sum_f8e4m3_0_0_4v
	.hidden	_Z50ncclDevFunc_AllReduce_RING_SIMPLE_Sum_f8e5m2_0_0_4v
	.hidden	_Z47ncclDevFunc_AllReduce_RING_SIMPLE_Prod_u8_0_0_4v
	.hidden	_Z48ncclDevFunc_AllReduce_RING_SIMPLE_Prod_u32_0_0_4v
	.hidden	_Z48ncclDevFunc_AllReduce_RING_SIMPLE_Prod_u64_0_0_4v
	.hidden	_Z48ncclDevFunc_AllReduce_RING_SIMPLE_Prod_f16_0_0_4v
	.hidden	_Z48ncclDevFunc_AllReduce_RING_SIMPLE_Prod_f32_0_0_4v
	.hidden	_Z48ncclDevFunc_AllReduce_RING_SIMPLE_Prod_f64_0_0_4v
	.hidden	_Z49ncclDevFunc_AllReduce_RING_SIMPLE_Prod_bf16_0_0_4v
	.hidden	_Z49ncclDevFunc_AllReduce_RING_SIMPLE_Prod_bf16_0_1_4v
	.hidden	_Z51ncclDevFunc_AllReduce_RING_SIMPLE_Prod_f8e4m3_0_0_4v
	.hidden	_Z51ncclDevFunc_AllReduce_RING_SIMPLE_Prod_f8e5m2_0_0_4v
	.hidden	_Z49ncclDevFunc_AllReduce_RING_SIMPLE_MinMax_u8_0_0_4v
	.hidden	_Z50ncclDevFunc_AllReduce_RING_SIMPLE_MinMax_u32_0_0_4v
	.hidden	_Z50ncclDevFunc_AllReduce_RING_SIMPLE_MinMax_u64_0_0_4v
	.hidden	_Z50ncclDevFunc_AllReduce_RING_SIMPLE_MinMax_f16_0_0_4v
	.hidden	_Z50ncclDevFunc_AllReduce_RING_SIMPLE_MinMax_f32_0_0_4v
	.hidden	_Z50ncclDevFunc_AllReduce_RING_SIMPLE_MinMax_f64_0_0_4v
	.hidden	_Z51ncclDevFunc_AllReduce_RING_SIMPLE_MinMax_bf16_0_0_4v
	.hidden	_Z51ncclDevFunc_AllReduce_RING_SIMPLE_MinMax_bf16_0_1_4v
	.hidden	_Z53ncclDevFunc_AllReduce_RING_SIMPLE_MinMax_f8e4m3_0_0_4v
	.hidden	_Z53ncclDevFunc_AllReduce_RING_SIMPLE_MinMax_f8e5m2_0_0_4v
	.hidden	_Z52ncclDevFunc_AllReduce_RING_SIMPLE_PreMulSum_u8_0_0_4v
	.hidden	_Z53ncclDevFunc_AllReduce_RING_SIMPLE_PreMulSum_u32_0_0_4v
	.hidden	_Z53ncclDevFunc_AllReduce_RING_SIMPLE_PreMulSum_u64_0_0_4v
	.hidden	_Z53ncclDevFunc_AllReduce_RING_SIMPLE_PreMulSum_f16_0_0_4v
	.hidden	_Z53ncclDevFunc_AllReduce_RING_SIMPLE_PreMulSum_f32_0_0_4v
	.hidden	_Z53ncclDevFunc_AllReduce_RING_SIMPLE_PreMulSum_f64_0_0_4v
	.hidden	_Z54ncclDevFunc_AllReduce_RING_SIMPLE_PreMulSum_bf16_0_0_4v
	.hidden	_Z54ncclDevFunc_AllReduce_RING_SIMPLE_PreMulSum_bf16_0_1_4v
	.hidden	_Z56ncclDevFunc_AllReduce_RING_SIMPLE_PreMulSum_f8e4m3_0_0_4v
	.hidden	_Z56ncclDevFunc_AllReduce_RING_SIMPLE_PreMulSum_f8e5m2_0_0_4v
	.hidden	_Z53ncclDevFunc_AllReduce_RING_SIMPLE_SumPostDiv_u8_0_0_4v
	.hidden	_Z54ncclDevFunc_AllReduce_RING_SIMPLE_SumPostDiv_u32_0_0_4v
	.hidden	_Z54ncclDevFunc_AllReduce_RING_SIMPLE_SumPostDiv_u64_0_0_4v
	.hidden	_Z45ncclDevFunc_SendRecv_RING_SIMPLE_Sum_i8_0_0_4v
	.hidden	_Z50ncclDevFunc_AlltoAllPivot_RING_SIMPLE_Sum_i8_0_0_4v
	.ident	"AMD clang version 22.0.0git (https://github.com/RadeonOpenCompute/llvm-project roc-7.2.4 26084 f58b06dce1f9c15707c5f808fd002e18c2accf7e)"
	.section	".note.GNU-stack","",@progbits
	.addrsig
	.addrsig_sym __hip_cuid_52c12ea79759ed14
	.amdgpu_metadata
---
amdhsa.kernels:
  - .args:
      - .offset:         0
        .size:           4096
        .value_kind:     by_value
      - .offset:         4096
        .size:           4
        .value_kind:     hidden_block_count_x
      - .offset:         4100
        .size:           4
        .value_kind:     hidden_block_count_y
      - .offset:         4104
        .size:           4
        .value_kind:     hidden_block_count_z
      - .offset:         4108
        .size:           2
        .value_kind:     hidden_group_size_x
      - .offset:         4110
        .size:           2
        .value_kind:     hidden_group_size_y
      - .offset:         4112
        .size:           2
        .value_kind:     hidden_group_size_z
      - .offset:         4114
        .size:           2
        .value_kind:     hidden_remainder_x
      - .offset:         4116
        .size:           2
        .value_kind:     hidden_remainder_y
      - .offset:         4118
        .size:           2
        .value_kind:     hidden_remainder_z
      - .offset:         4136
        .size:           8
        .value_kind:     hidden_global_offset_x
      - .offset:         4144
        .size:           8
        .value_kind:     hidden_global_offset_y
      - .offset:         4152
        .size:           8
        .value_kind:     hidden_global_offset_z
      - .offset:         4160
        .size:           2
        .value_kind:     hidden_grid_dims
      - .offset:         4176
        .size:           8
        .value_kind:     hidden_hostcall_buffer
      - .offset:         4184
        .size:           8
        .value_kind:     hidden_multigrid_sync_arg
      - .offset:         4192
        .size:           8
        .value_kind:     hidden_heap_v1
      - .offset:         4200
        .size:           8
        .value_kind:     hidden_default_queue
      - .offset:         4208
        .size:           8
        .value_kind:     hidden_completion_action
      - .offset:         4296
        .size:           8
        .value_kind:     hidden_queue_ptr
    .group_segment_fixed_size: 21216
    .kernarg_segment_align: 16
    .kernarg_segment_size: 4352
    .language:       OpenCL C
    .language_version:
      - 2
      - 0
    .max_flat_workgroup_size: 256
    .name:           _Z23ncclDevKernel_Generic_124ncclDevKernelArgsStorageILm4096EE
    .private_segment_fixed_size: 16
    .sgpr_count:     108
    .sgpr_spill_count: 58
    .symbol:         _Z23ncclDevKernel_Generic_124ncclDevKernelArgsStorageILm4096EE.kd
    .uniform_work_group_size: 1
    .uses_dynamic_stack: true
    .vgpr_count:     59
    .vgpr_spill_count: 2
    .wavefront_size: 32
  - .args:
      - .offset:         0
        .size:           4096
        .value_kind:     by_value
      - .offset:         4096
        .size:           4
        .value_kind:     hidden_block_count_x
      - .offset:         4100
        .size:           4
        .value_kind:     hidden_block_count_y
      - .offset:         4104
        .size:           4
        .value_kind:     hidden_block_count_z
      - .offset:         4108
        .size:           2
        .value_kind:     hidden_group_size_x
      - .offset:         4110
        .size:           2
        .value_kind:     hidden_group_size_y
      - .offset:         4112
        .size:           2
        .value_kind:     hidden_group_size_z
      - .offset:         4114
        .size:           2
        .value_kind:     hidden_remainder_x
      - .offset:         4116
        .size:           2
        .value_kind:     hidden_remainder_y
      - .offset:         4118
        .size:           2
        .value_kind:     hidden_remainder_z
      - .offset:         4136
        .size:           8
        .value_kind:     hidden_global_offset_x
      - .offset:         4144
        .size:           8
        .value_kind:     hidden_global_offset_y
      - .offset:         4152
        .size:           8
        .value_kind:     hidden_global_offset_z
      - .offset:         4160
        .size:           2
        .value_kind:     hidden_grid_dims
      - .offset:         4176
        .size:           8
        .value_kind:     hidden_hostcall_buffer
      - .offset:         4184
        .size:           8
        .value_kind:     hidden_multigrid_sync_arg
      - .offset:         4192
        .size:           8
        .value_kind:     hidden_heap_v1
      - .offset:         4200
        .size:           8
        .value_kind:     hidden_default_queue
      - .offset:         4208
        .size:           8
        .value_kind:     hidden_completion_action
      - .offset:         4296
        .size:           8
        .value_kind:     hidden_queue_ptr
    .group_segment_fixed_size: 21216
    .kernarg_segment_align: 16
    .kernarg_segment_size: 4352
    .language:       OpenCL C
    .language_version:
      - 2
      - 0
    .max_flat_workgroup_size: 256
    .name:           _Z23ncclDevKernel_Generic_224ncclDevKernelArgsStorageILm4096EE
    .private_segment_fixed_size: 16
    .sgpr_count:     108
    .sgpr_spill_count: 58
    .symbol:         _Z23ncclDevKernel_Generic_224ncclDevKernelArgsStorageILm4096EE.kd
    .uniform_work_group_size: 1
    .uses_dynamic_stack: true
    .vgpr_count:     59
    .vgpr_spill_count: 2
    .wavefront_size: 32
  - .args:
      - .offset:         0
        .size:           4096
        .value_kind:     by_value
      - .offset:         4096
        .size:           4
        .value_kind:     hidden_block_count_x
      - .offset:         4100
        .size:           4
        .value_kind:     hidden_block_count_y
      - .offset:         4104
        .size:           4
        .value_kind:     hidden_block_count_z
      - .offset:         4108
        .size:           2
        .value_kind:     hidden_group_size_x
      - .offset:         4110
        .size:           2
        .value_kind:     hidden_group_size_y
      - .offset:         4112
        .size:           2
        .value_kind:     hidden_group_size_z
      - .offset:         4114
        .size:           2
        .value_kind:     hidden_remainder_x
      - .offset:         4116
        .size:           2
        .value_kind:     hidden_remainder_y
      - .offset:         4118
        .size:           2
        .value_kind:     hidden_remainder_z
      - .offset:         4136
        .size:           8
        .value_kind:     hidden_global_offset_x
      - .offset:         4144
        .size:           8
        .value_kind:     hidden_global_offset_y
      - .offset:         4152
        .size:           8
        .value_kind:     hidden_global_offset_z
      - .offset:         4160
        .size:           2
        .value_kind:     hidden_grid_dims
      - .offset:         4176
        .size:           8
        .value_kind:     hidden_hostcall_buffer
      - .offset:         4184
        .size:           8
        .value_kind:     hidden_multigrid_sync_arg
      - .offset:         4192
        .size:           8
        .value_kind:     hidden_heap_v1
      - .offset:         4200
        .size:           8
        .value_kind:     hidden_default_queue
      - .offset:         4208
        .size:           8
        .value_kind:     hidden_completion_action
      - .offset:         4296
        .size:           8
        .value_kind:     hidden_queue_ptr
    .group_segment_fixed_size: 21216
    .kernarg_segment_align: 16
    .kernarg_segment_size: 4352
    .language:       OpenCL C
    .language_version:
      - 2
      - 0
    .max_flat_workgroup_size: 256
    .name:           _Z23ncclDevKernel_Generic_424ncclDevKernelArgsStorageILm4096EE
    .private_segment_fixed_size: 16
    .sgpr_count:     108
    .sgpr_spill_count: 58
    .symbol:         _Z23ncclDevKernel_Generic_424ncclDevKernelArgsStorageILm4096EE.kd
    .uniform_work_group_size: 1
    .uses_dynamic_stack: true
    .vgpr_count:     59
    .vgpr_spill_count: 2
    .wavefront_size: 32
amdhsa.target:   amdgcn-amd-amdhsa--gfx1250
amdhsa.version:
  - 1
  - 2
...

	.end_amdgpu_metadata
